;; amdgpu-corpus repo=ROCm/rocFFT kind=compiled arch=gfx1100 opt=O3
	.text
	.amdgcn_target "amdgcn-amd-amdhsa--gfx1100"
	.amdhsa_code_object_version 6
	.protected	bluestein_single_fwd_len792_dim1_dp_op_CI_CI ; -- Begin function bluestein_single_fwd_len792_dim1_dp_op_CI_CI
	.globl	bluestein_single_fwd_len792_dim1_dp_op_CI_CI
	.p2align	8
	.type	bluestein_single_fwd_len792_dim1_dp_op_CI_CI,@function
bluestein_single_fwd_len792_dim1_dp_op_CI_CI: ; @bluestein_single_fwd_len792_dim1_dp_op_CI_CI
; %bb.0:
	s_load_b128 s[8:11], s[0:1], 0x28
	v_mul_u32_u24_e32 v1, 0x2e9, v0
	v_mov_b32_e32 v8, 0
	s_mov_b32 s2, exec_lo
	s_delay_alu instid0(VALU_DEP_2) | instskip(NEXT) | instid1(VALU_DEP_1)
	v_lshrrev_b32_e32 v2, 16, v1
	v_lshl_add_u32 v7, s15, 1, v2
	s_waitcnt lgkmcnt(0)
	s_delay_alu instid0(VALU_DEP_1)
	v_cmpx_gt_u64_e64 s[8:9], v[7:8]
	s_cbranch_execz .LBB0_39
; %bb.1:
	s_clause 0x1
	s_load_b128 s[4:7], s[0:1], 0x18
	s_load_b64 s[2:3], s[0:1], 0x0
	v_mul_lo_u16 v1, 0x58, v2
	v_mov_b32_e32 v5, v7
	s_delay_alu instid0(VALU_DEP_2) | instskip(NEXT) | instid1(VALU_DEP_1)
	v_sub_nc_u16 v13, v0, v1
	v_and_b32_e32 v14, 0xffff, v13
	s_delay_alu instid0(VALU_DEP_1)
	v_lshlrev_b32_e32 v15, 4, v14
	s_waitcnt lgkmcnt(0)
	s_load_b128 s[12:15], s[4:5], 0x0
	s_clause 0x2
	global_load_b128 v[19:22], v15, s[2:3]
	global_load_b128 v[84:87], v15, s[2:3] offset:1408
	global_load_b128 v[88:91], v15, s[2:3] offset:2816
	scratch_store_b64 off, v[5:6], off offset:4 ; 8-byte Folded Spill
	s_waitcnt lgkmcnt(0)
	v_mad_u64_u32 v[0:1], null, s14, v7, 0
	v_mad_u64_u32 v[3:4], null, s12, v14, 0
	s_mul_hi_u32 s5, s12, 0x18c
	s_mul_hi_u32 s9, s12, 0xfffffecc
	s_mul_i32 s8, s13, 0xfffffecc
	s_delay_alu instid0(VALU_DEP_2) | instskip(SKIP_1) | instid1(VALU_DEP_2)
	v_mad_u64_u32 v[5:6], null, s15, v7, v[1:2]
	v_and_b32_e32 v2, 1, v2
	v_mad_u64_u32 v[6:7], null, s13, v14, v[4:5]
	v_mov_b32_e32 v1, v5
	s_delay_alu instid0(VALU_DEP_1) | instskip(NEXT) | instid1(VALU_DEP_3)
	v_lshlrev_b64 v[0:1], 4, v[0:1]
	v_mov_b32_e32 v4, v6
	v_add_co_u32 v160, s4, s2, v15
	s_delay_alu instid0(VALU_DEP_1) | instskip(NEXT) | instid1(VALU_DEP_3)
	v_add_co_ci_u32_e64 v16, null, s3, 0, s4
	v_lshlrev_b64 v[3:4], 4, v[3:4]
	s_delay_alu instid0(VALU_DEP_3) | instskip(NEXT) | instid1(VALU_DEP_3)
	v_add_co_u32 v30, vcc_lo, 0x1000, v160
	v_add_co_ci_u32_e32 v31, vcc_lo, 0, v16, vcc_lo
	v_add_co_u32 v28, vcc_lo, 0x2000, v160
	v_add_co_ci_u32_e32 v29, vcc_lo, 0, v16, vcc_lo
	;; [unrolled: 2-line block ×3, first 2 shown]
	s_mul_i32 s3, s13, 0x18c
	s_delay_alu instid0(VALU_DEP_2)
	v_add_co_u32 v0, vcc_lo, v0, v3
	s_mul_i32 s2, s12, 0x18c
	s_add_i32 s3, s5, s3
	v_add_co_ci_u32_e32 v1, vcc_lo, v1, v4, vcc_lo
	s_lshl_b64 s[10:11], s[2:3], 4
	s_sub_i32 s5, s9, s12
	v_add_co_u32 v7, vcc_lo, v0, s10
	s_mul_i32 s4, s12, 0xfffffecc
	s_add_i32 s5, s5, s8
	v_add_co_ci_u32_e32 v8, vcc_lo, s11, v1, vcc_lo
	s_lshl_b64 s[2:3], s[4:5], 4
	global_load_b128 v[100:103], v[30:31], off offset:2240
	v_add_co_u32 v11, vcc_lo, v7, s2
	v_add_co_ci_u32_e32 v12, vcc_lo, s3, v8, vcc_lo
	s_clause 0x1
	global_load_b128 v[96:99], v[30:31], off offset:3648
	global_load_b128 v[92:95], v[28:29], off offset:960
	v_add_co_u32 v17, vcc_lo, v11, s10
	v_add_co_ci_u32_e32 v18, vcc_lo, s11, v12, vcc_lo
	global_load_b128 v[3:6], v[0:1], off
	v_add_co_u32 v24, vcc_lo, v17, s2
	v_add_co_ci_u32_e32 v25, vcc_lo, s3, v18, vcc_lo
	s_clause 0x1
	global_load_b128 v[7:10], v[7:8], off
	global_load_b128 v[32:35], v[11:12], off
	v_add_co_u32 v26, vcc_lo, v24, s10
	v_add_co_ci_u32_e32 v27, vcc_lo, s11, v25, vcc_lo
	s_clause 0x1
	global_load_b128 v[36:39], v[17:18], off
	global_load_b128 v[40:43], v[24:25], off
	v_add_co_u32 v11, vcc_lo, v26, s2
	v_add_co_ci_u32_e32 v12, vcc_lo, s3, v27, vcc_lo
	scratch_store_b64 off, v[30:31], off offset:36 ; 8-byte Folded Spill
	v_add_co_u32 v0, vcc_lo, v11, s10
	v_add_co_ci_u32_e32 v1, vcc_lo, s11, v12, vcc_lo
	global_load_b128 v[44:47], v[26:27], off
	global_load_b128 v[23:26], v[30:31], off offset:128
	global_load_b128 v[48:51], v[11:12], off
	scratch_store_b64 off, v[28:29], off offset:28 ; 8-byte Folded Spill
	global_load_b128 v[27:30], v[28:29], off offset:2368
	global_load_b128 v[52:55], v[0:1], off
	v_cmp_eq_u32_e32 vcc_lo, 1, v2
	v_cndmask_b32_e64 v2, 0, 0x318, vcc_lo
	v_cmp_gt_u16_e32 vcc_lo, 44, v13
	s_delay_alu instid0(VALU_DEP_2) | instskip(NEXT) | instid1(VALU_DEP_1)
	v_lshlrev_b32_e32 v255, 4, v2
	v_add_nc_u32_e32 v15, v255, v15
	s_waitcnt vmcnt(15)
	scratch_store_b128 off, v[19:22], off offset:12 ; 16-byte Folded Spill
	s_waitcnt vmcnt(14)
	scratch_store_b128 off, v[84:87], off offset:44 ; 16-byte Folded Spill
	;; [unrolled: 2-line block ×6, first 2 shown]
	s_waitcnt vmcnt(9)
	v_mul_f64 v[11:12], v[5:6], v[21:22]
	v_mul_f64 v[17:18], v[3:4], v[21:22]
	s_waitcnt vmcnt(8)
	v_mul_f64 v[56:57], v[9:10], v[102:103]
	s_waitcnt vmcnt(7)
	v_mul_f64 v[60:61], v[34:35], v[86:87]
	v_mul_f64 v[62:63], v[32:33], v[86:87]
	v_mul_f64 v[58:59], v[7:8], v[102:103]
	s_waitcnt vmcnt(6)
	v_mul_f64 v[64:65], v[38:39], v[98:99]
	s_waitcnt vmcnt(5)
	v_mul_f64 v[68:69], v[42:43], v[90:91]
	;; [unrolled: 6-line block ×3, first 2 shown]
	v_mul_f64 v[78:79], v[48:49], v[25:26]
	v_mul_f64 v[74:75], v[44:45], v[94:95]
	s_waitcnt vmcnt(0)
	v_mul_f64 v[80:81], v[54:55], v[29:30]
	v_mul_f64 v[82:83], v[52:53], v[29:30]
	s_clause 0x1
	scratch_store_b128 off, v[23:26], off offset:124
	scratch_store_b128 off, v[27:30], off offset:140
	s_load_b64 s[8:9], s[0:1], 0x38
	s_load_b128 s[4:7], s[6:7], 0x0
	v_fma_f64 v[3:4], v[3:4], v[19:20], v[11:12]
	v_fma_f64 v[5:6], v[5:6], v[19:20], -v[17:18]
	v_fma_f64 v[7:8], v[7:8], v[100:101], v[56:57]
	v_fma_f64 v[32:33], v[32:33], v[84:85], v[60:61]
	v_fma_f64 v[34:35], v[34:35], v[84:85], -v[62:63]
	v_fma_f64 v[9:10], v[9:10], v[100:101], -v[58:59]
	v_fma_f64 v[36:37], v[36:37], v[96:97], v[64:65]
	v_fma_f64 v[40:41], v[40:41], v[88:89], v[68:69]
	v_fma_f64 v[42:43], v[42:43], v[88:89], -v[70:71]
	v_fma_f64 v[38:39], v[38:39], v[96:97], -v[66:67]
	ds_store_b128 v15, v[3:6]
	ds_store_b128 v15, v[32:35] offset:1408
	ds_store_b128 v15, v[7:10] offset:6336
	;; [unrolled: 1-line block ×3, first 2 shown]
	v_fma_f64 v[48:49], v[48:49], v[23:24], v[76:77]
	v_fma_f64 v[50:51], v[50:51], v[23:24], -v[78:79]
	v_fma_f64 v[44:45], v[44:45], v[92:93], v[72:73]
	v_fma_f64 v[46:47], v[46:47], v[92:93], -v[74:75]
	;; [unrolled: 2-line block ×3, first 2 shown]
	ds_store_b128 v15, v[40:43] offset:2816
	ds_store_b128 v15, v[48:51] offset:4224
	;; [unrolled: 1-line block ×4, first 2 shown]
	s_and_saveexec_b32 s12, vcc_lo
	s_cbranch_execz .LBB0_3
; %bb.2:
	v_add_co_u32 v0, s2, v0, s2
	s_delay_alu instid0(VALU_DEP_1) | instskip(NEXT) | instid1(VALU_DEP_2)
	v_add_co_ci_u32_e64 v1, s2, s3, v1, s2
	v_add_co_u32 v12, s2, v0, s10
	s_delay_alu instid0(VALU_DEP_1)
	v_add_co_ci_u32_e64 v13, s2, s11, v1, s2
	global_load_b128 v[0:3], v[0:1], off
	scratch_load_b64 v[4:5], off, off offset:36 ; 8-byte Folded Reload
	s_waitcnt vmcnt(0)
	global_load_b128 v[4:7], v[4:5], off offset:1536
	scratch_load_b64 v[8:9], off, off offset:28 ; 8-byte Folded Reload
	s_waitcnt vmcnt(0)
	global_load_b128 v[8:11], v[8:9], off offset:3776
	global_load_b128 v[32:35], v[12:13], off
	v_mul_f64 v[12:13], v[2:3], v[6:7]
	v_mul_f64 v[6:7], v[0:1], v[6:7]
	s_delay_alu instid0(VALU_DEP_2) | instskip(NEXT) | instid1(VALU_DEP_2)
	v_fma_f64 v[0:1], v[0:1], v[4:5], v[12:13]
	v_fma_f64 v[2:3], v[2:3], v[4:5], -v[6:7]
	s_waitcnt vmcnt(0)
	v_mul_f64 v[17:18], v[34:35], v[10:11]
	v_mul_f64 v[10:11], v[32:33], v[10:11]
	s_delay_alu instid0(VALU_DEP_2) | instskip(NEXT) | instid1(VALU_DEP_2)
	v_fma_f64 v[4:5], v[32:33], v[8:9], v[17:18]
	v_fma_f64 v[6:7], v[34:35], v[8:9], -v[10:11]
	ds_store_b128 v15, v[0:3] offset:5632
	ds_store_b128 v15, v[4:7] offset:11968
.LBB0_3:
	s_or_b32 exec_lo, exec_lo, s12
	s_waitcnt lgkmcnt(0)
	s_waitcnt_vscnt null, 0x0
	s_barrier
	buffer_gl0_inv
	ds_load_b128 v[32:35], v15
	ds_load_b128 v[36:39], v15 offset:1408
	ds_load_b128 v[68:71], v15 offset:6336
	;; [unrolled: 1-line block ×7, first 2 shown]
                                        ; implicit-def: $vgpr52_vgpr53
                                        ; implicit-def: $vgpr56_vgpr57
	s_and_saveexec_b32 s2, vcc_lo
	s_cbranch_execz .LBB0_5
; %bb.4:
	ds_load_b128 v[52:55], v15 offset:5632
	ds_load_b128 v[56:59], v15 offset:11968
.LBB0_5:
	s_or_b32 exec_lo, exec_lo, s2
	s_waitcnt lgkmcnt(5)
	v_add_f64 v[7:8], v[32:33], -v[68:69]
	v_add_f64 v[9:10], v[34:35], -v[70:71]
	s_waitcnt lgkmcnt(0)
	v_add_f64 v[68:69], v[48:49], -v[40:41]
	v_add_f64 v[70:71], v[50:51], -v[42:43]
	;; [unrolled: 1-line block ×8, first 2 shown]
	s_load_b64 s[2:3], s[0:1], 0x8
	v_add_co_u32 v0, s0, 0x58, v14
	s_delay_alu instid0(VALU_DEP_1) | instskip(SKIP_1) | instid1(VALU_DEP_1)
	v_add_co_ci_u32_e64 v1, null, 0, 0, s0
	v_add_co_u32 v1, s0, 0xb0, v14
	v_add_co_ci_u32_e64 v2, null, 0, 0, s0
	v_lshlrev_b32_e32 v2, 1, v14
	v_add_co_u32 v6, null, 0x160, v14
	s_waitcnt lgkmcnt(0)
	s_barrier
	s_delay_alu instid0(VALU_DEP_2) | instskip(NEXT) | instid1(VALU_DEP_2)
	v_add_nc_u32_e32 v4, 0x210, v2
	v_lshl_add_u32 v11, v6, 5, v255
	buffer_gl0_inv
	v_lshl_add_u32 v12, v14, 5, v255
	v_lshlrev_b32_e32 v3, 1, v0
	v_lshl_add_u32 v17, v0, 5, v255
	v_lshlrev_b32_e32 v5, 1, v1
	v_lshl_add_u32 v13, v1, 5, v255
	scratch_store_b32 off, v11, off offset:220 ; 4-byte Folded Spill
	v_lshl_add_u32 v11, v4, 4, v255
	v_fma_f64 v[56:57], v[32:33], 2.0, -v[7:8]
	v_fma_f64 v[58:59], v[34:35], 2.0, -v[9:10]
	;; [unrolled: 1-line block ×10, first 2 shown]
	ds_store_b128 v12, v[56:59]
	ds_store_b128 v12, v[7:10] offset:16
	ds_store_b128 v17, v[36:39]
	scratch_store_b32 off, v17, off offset:164 ; 4-byte Folded Spill
	ds_store_b128 v17, v[64:67] offset:16
	ds_store_b128 v13, v[44:47]
	scratch_store_b32 off, v13, off offset:156 ; 4-byte Folded Spill
	;; [unrolled: 3-line block ×3, first 2 shown]
	ds_store_b128 v11, v[68:71] offset:16
	s_and_saveexec_b32 s0, vcc_lo
	s_cbranch_execz .LBB0_7
; %bb.6:
	v_lshl_add_u32 v7, v6, 5, v255
	ds_store_b128 v7, v[32:35]
	ds_store_b128 v7, v[40:43] offset:16
.LBB0_7:
	s_or_b32 exec_lo, exec_lo, s0
	s_waitcnt lgkmcnt(0)
	s_waitcnt_vscnt null, 0x0
	s_barrier
	buffer_gl0_inv
	ds_load_b128 v[48:51], v15
	ds_load_b128 v[52:55], v15 offset:1408
	ds_load_b128 v[64:67], v15 offset:6336
	;; [unrolled: 1-line block ×7, first 2 shown]
	s_and_saveexec_b32 s0, vcc_lo
	s_cbranch_execz .LBB0_9
; %bb.8:
	ds_load_b128 v[32:35], v15 offset:5632
	ds_load_b128 v[40:43], v15 offset:11968
.LBB0_9:
	s_or_b32 exec_lo, exec_lo, s0
	v_and_b32_e32 v13, 1, v14
	v_lshlrev_b32_e32 v6, 1, v6
	s_delay_alu instid0(VALU_DEP_2)
	v_lshlrev_b32_e32 v7, 4, v13
	scratch_store_b32 off, v6, off          ; 4-byte Folded Spill
	v_and_or_b32 v6, 0xfc, v2, v13
	global_load_b128 v[36:39], v7, s[2:3]
	s_waitcnt vmcnt(0) lgkmcnt(0)
	s_waitcnt_vscnt null, 0x0
	s_barrier
	buffer_gl0_inv
	v_mul_f64 v[7:8], v[66:67], v[38:39]
	v_mul_f64 v[9:10], v[64:65], v[38:39]
	;; [unrolled: 1-line block ×10, first 2 shown]
	v_fma_f64 v[7:8], v[64:65], v[36:37], -v[7:8]
	v_fma_f64 v[9:10], v[66:67], v[36:37], v[9:10]
	v_fma_f64 v[11:12], v[44:45], v[36:37], -v[11:12]
	v_fma_f64 v[17:18], v[46:47], v[36:37], v[17:18]
	;; [unrolled: 2-line block ×5, first 2 shown]
	v_add_f64 v[7:8], v[48:49], -v[7:8]
	v_add_f64 v[9:10], v[50:51], -v[9:10]
	;; [unrolled: 1-line block ×10, first 2 shown]
	v_and_or_b32 v11, 0x1fc, v3, v13
	v_and_or_b32 v12, 0x3fc, v5, v13
	v_and_or_b32 v13, 0x3fc, v4, v13
	v_lshl_add_u32 v18, v6, 4, v255
	s_delay_alu instid0(VALU_DEP_4) | instskip(NEXT) | instid1(VALU_DEP_4)
	v_lshl_add_u32 v17, v11, 4, v255
	v_lshl_add_u32 v11, v12, 4, v255
	s_delay_alu instid0(VALU_DEP_4)
	v_lshl_add_u32 v6, v13, 4, v255
	scratch_store_b32 off, v18, off offset:184 ; 4-byte Folded Spill
	v_fma_f64 v[48:49], v[48:49], 2.0, -v[7:8]
	v_fma_f64 v[50:51], v[50:51], 2.0, -v[9:10]
	;; [unrolled: 1-line block ×10, first 2 shown]
	ds_store_b128 v18, v[48:51]
	ds_store_b128 v18, v[7:10] offset:32
	ds_store_b128 v17, v[52:55]
	scratch_store_b32 off, v17, off offset:176 ; 4-byte Folded Spill
	ds_store_b128 v17, v[64:67] offset:32
	ds_store_b128 v11, v[56:59]
	scratch_store_b32 off, v11, off offset:172 ; 4-byte Folded Spill
	;; [unrolled: 3-line block ×3, first 2 shown]
	ds_store_b128 v6, v[72:75] offset:32
	s_and_saveexec_b32 s0, vcc_lo
	s_cbranch_execz .LBB0_11
; %bb.10:
	scratch_load_b32 v6, off, off           ; 4-byte Folded Reload
	v_and_b32_e32 v7, 1, v14
	s_waitcnt vmcnt(0)
	s_delay_alu instid0(VALU_DEP_1) | instskip(NEXT) | instid1(VALU_DEP_1)
	v_and_or_b32 v6, 0x3fc, v6, v7
	v_lshl_add_u32 v6, v6, 4, v255
	ds_store_b128 v6, v[40:43]
	ds_store_b128 v6, v[44:47] offset:32
.LBB0_11:
	s_or_b32 exec_lo, exec_lo, s0
	s_waitcnt lgkmcnt(0)
	s_waitcnt_vscnt null, 0x0
	s_barrier
	buffer_gl0_inv
	ds_load_b128 v[52:55], v15
	ds_load_b128 v[56:59], v15 offset:1408
	ds_load_b128 v[68:71], v15 offset:6336
	;; [unrolled: 1-line block ×7, first 2 shown]
	s_and_saveexec_b32 s0, vcc_lo
	s_cbranch_execz .LBB0_13
; %bb.12:
	ds_load_b128 v[40:43], v15 offset:5632
	ds_load_b128 v[44:47], v15 offset:11968
.LBB0_13:
	s_or_b32 exec_lo, exec_lo, s0
	v_and_b32_e32 v19, 3, v14
	s_delay_alu instid0(VALU_DEP_1)
	v_lshlrev_b32_e32 v6, 4, v19
	v_and_or_b32 v2, 0xf8, v2, v19
	v_and_or_b32 v3, 0x1f8, v3, v19
	v_and_or_b32 v5, 0x3f8, v5, v19
	v_and_or_b32 v4, 0x3f8, v4, v19
	global_load_b128 v[32:35], v6, s[2:3] offset:32
	s_waitcnt vmcnt(0) lgkmcnt(0)
	s_barrier
	buffer_gl0_inv
	v_mul_f64 v[6:7], v[70:71], v[34:35]
	v_mul_f64 v[8:9], v[68:69], v[34:35]
	;; [unrolled: 1-line block ×8, first 2 shown]
	v_fma_f64 v[6:7], v[68:69], v[32:33], -v[6:7]
	v_fma_f64 v[8:9], v[70:71], v[32:33], v[8:9]
	v_fma_f64 v[10:11], v[64:65], v[32:33], -v[10:11]
	v_fma_f64 v[12:13], v[66:67], v[32:33], v[12:13]
	;; [unrolled: 2-line block ×4, first 2 shown]
	v_mul_f64 v[72:73], v[46:47], v[34:35]
	v_mul_f64 v[74:75], v[44:45], v[34:35]
	v_add_f64 v[6:7], v[52:53], -v[6:7]
	v_add_f64 v[8:9], v[54:55], -v[8:9]
	;; [unrolled: 1-line block ×8, first 2 shown]
	v_fma_f64 v[17:18], v[44:45], v[32:33], -v[72:73]
	v_fma_f64 v[72:73], v[46:47], v[32:33], v[74:75]
	v_fma_f64 v[44:45], v[52:53], 2.0, -v[6:7]
	v_fma_f64 v[46:47], v[54:55], 2.0, -v[8:9]
	;; [unrolled: 1-line block ×8, first 2 shown]
	v_add_f64 v[48:49], v[40:41], -v[17:18]
	v_add_f64 v[50:51], v[42:43], -v[72:73]
	v_lshl_add_u32 v18, v2, 4, v255
	v_lshl_add_u32 v17, v3, 4, v255
	;; [unrolled: 1-line block ×4, first 2 shown]
	scratch_store_b32 off, v18, off offset:196 ; 4-byte Folded Spill
	ds_store_b128 v18, v[44:47]
	ds_store_b128 v18, v[6:9] offset:64
	ds_store_b128 v17, v[52:55]
	scratch_store_b32 off, v17, off offset:192 ; 4-byte Folded Spill
	ds_store_b128 v17, v[10:13] offset:64
	ds_store_b128 v3, v[56:59]
	scratch_store_b32 off, v3, off offset:188 ; 4-byte Folded Spill
	;; [unrolled: 3-line block ×3, first 2 shown]
	ds_store_b128 v2, v[68:71] offset:64
	s_and_saveexec_b32 s0, vcc_lo
	s_cbranch_execz .LBB0_15
; %bb.14:
	scratch_load_b32 v6, off, off           ; 4-byte Folded Reload
	v_fma_f64 v[4:5], v[42:43], 2.0, -v[50:51]
	v_fma_f64 v[2:3], v[40:41], 2.0, -v[48:49]
	v_and_b32_e32 v7, 3, v14
	s_waitcnt vmcnt(0)
	s_delay_alu instid0(VALU_DEP_1) | instskip(NEXT) | instid1(VALU_DEP_1)
	v_and_or_b32 v6, 0x3f8, v6, v7
	v_lshl_add_u32 v6, v6, 4, v255
	ds_store_b128 v6, v[2:5]
	ds_store_b128 v6, v[48:51] offset:64
.LBB0_15:
	s_or_b32 exec_lo, exec_lo, s0
	v_and_b32_e32 v19, 7, v14
	s_waitcnt lgkmcnt(0)
	s_waitcnt_vscnt null, 0x0
	s_barrier
	buffer_gl0_inv
	s_mov_b32 s0, 0xe8584caa
	v_lshlrev_b32_e32 v2, 5, v19
	s_mov_b32 s1, 0x3febb67a
	s_mov_b32 s11, 0xbfebb67a
	s_mov_b32 s10, s0
	v_lshrrev_b32_e32 v20, 3, v0
	s_clause 0x1
	global_load_b128 v[60:63], v2, s[2:3] offset:96
	global_load_b128 v[56:59], v2, s[2:3] offset:112
	ds_load_b128 v[2:5], v15 offset:4224
	ds_load_b128 v[6:9], v15 offset:8448
	;; [unrolled: 1-line block ×7, first 2 shown]
	v_and_b32_e32 v22, 0xff, v14
	v_and_b32_e32 v23, 0xff, v0
	;; [unrolled: 1-line block ×3, first 2 shown]
	v_lshrrev_b32_e32 v21, 3, v1
	s_delay_alu instid0(VALU_DEP_1)
	v_mul_u32_u24_e32 v21, 24, v21
	s_waitcnt vmcnt(1) lgkmcnt(6)
	v_mul_f64 v[17:18], v[4:5], v[62:63]
	s_waitcnt vmcnt(0) lgkmcnt(5)
	v_mul_f64 v[68:69], v[8:9], v[58:59]
	v_mul_f64 v[70:71], v[2:3], v[62:63]
	;; [unrolled: 1-line block ×3, first 2 shown]
	s_waitcnt lgkmcnt(2)
	v_mul_f64 v[82:83], v[46:47], v[62:63]
	s_waitcnt lgkmcnt(1)
	v_mul_f64 v[84:85], v[54:55], v[58:59]
	v_mul_f64 v[86:87], v[44:45], v[62:63]
	;; [unrolled: 1-line block ×7, first 2 shown]
	v_fma_f64 v[17:18], v[2:3], v[60:61], -v[17:18]
	v_fma_f64 v[68:69], v[6:7], v[56:57], -v[68:69]
	v_fma_f64 v[70:71], v[4:5], v[60:61], v[70:71]
	v_fma_f64 v[72:73], v[8:9], v[56:57], v[72:73]
	v_fma_f64 v[44:45], v[44:45], v[60:61], -v[82:83]
	v_fma_f64 v[52:53], v[52:53], v[56:57], -v[84:85]
	v_fma_f64 v[46:47], v[46:47], v[60:61], v[86:87]
	v_fma_f64 v[54:55], v[54:55], v[56:57], v[88:89]
	;; [unrolled: 4-line block ×3, first 2 shown]
	ds_load_b128 v[2:5], v15
	ds_load_b128 v[6:9], v15 offset:1408
	s_waitcnt lgkmcnt(0)
	s_barrier
	buffer_gl0_inv
	v_add_f64 v[86:87], v[2:3], v[17:18]
	v_add_f64 v[74:75], v[17:18], v[68:69]
	v_add_f64 v[17:18], v[17:18], -v[68:69]
	v_add_f64 v[76:77], v[70:71], v[72:73]
	v_add_f64 v[88:89], v[70:71], -v[72:73]
	v_add_f64 v[82:83], v[44:45], v[52:53]
	v_add_f64 v[70:71], v[4:5], v[70:71]
	;; [unrolled: 1-line block ×5, first 2 shown]
	v_add_f64 v[102:103], v[46:47], -v[54:55]
	v_add_f64 v[80:81], v[12:13], v[42:43]
	v_add_f64 v[104:105], v[44:45], -v[52:53]
	v_add_f64 v[92:93], v[8:9], v[12:13]
	v_add_f64 v[94:95], v[64:65], v[44:45]
	v_add_f64 v[96:97], v[66:67], v[46:47]
	v_add_f64 v[98:99], v[12:13], -v[42:43]
	v_add_f64 v[100:101], v[10:11], -v[40:41]
	v_fma_f64 v[74:75], v[74:75], -0.5, v[2:3]
	v_lshrrev_b32_e32 v2, 3, v14
	v_fma_f64 v[76:77], v[76:77], -0.5, v[4:5]
	v_fma_f64 v[82:83], v[82:83], -0.5, v[64:65]
	v_add_f64 v[4:5], v[70:71], v[72:73]
	v_fma_f64 v[84:85], v[84:85], -0.5, v[66:67]
	v_mul_u32_u24_e32 v25, 24, v2
	v_fma_f64 v[78:79], v[78:79], -0.5, v[6:7]
	v_add_f64 v[2:3], v[86:87], v[68:69]
	v_fma_f64 v[80:81], v[80:81], -0.5, v[8:9]
	v_add_f64 v[6:7], v[90:91], v[40:41]
	v_add_f64 v[8:9], v[92:93], v[42:43]
	;; [unrolled: 1-line block ×4, first 2 shown]
	v_or_b32_e32 v25, v25, v19
	v_fma_f64 v[40:41], v[88:89], s[0:1], v[74:75]
	v_fma_f64 v[44:45], v[88:89], s[10:11], v[74:75]
	;; [unrolled: 1-line block ×12, first 2 shown]
	v_mul_u32_u24_e32 v17, 24, v20
	v_mul_lo_u16 v18, 0xab, v22
	v_mul_lo_u16 v20, 0xab, v23
	v_mul_u32_u24_e32 v22, 0xaaab, v24
	s_delay_alu instid0(VALU_DEP_4) | instskip(NEXT) | instid1(VALU_DEP_4)
	v_or_b32_e32 v17, v17, v19
	v_lshrrev_b16 v18, 12, v18
	s_delay_alu instid0(VALU_DEP_4) | instskip(NEXT) | instid1(VALU_DEP_4)
	v_lshrrev_b16 v20, 12, v20
	v_lshrrev_b32_e32 v22, 20, v22
	s_delay_alu instid0(VALU_DEP_3) | instskip(NEXT) | instid1(VALU_DEP_3)
	v_mul_lo_u16 v23, v18, 24
	v_mul_lo_u16 v24, v20, 24
	s_delay_alu instid0(VALU_DEP_3) | instskip(NEXT) | instid1(VALU_DEP_3)
	v_mul_lo_u16 v26, v22, 24
	v_sub_nc_u16 v23, v14, v23
	s_delay_alu instid0(VALU_DEP_3) | instskip(NEXT) | instid1(VALU_DEP_3)
	v_sub_nc_u16 v0, v0, v24
	v_sub_nc_u16 v24, v1, v26
	v_or_b32_e32 v1, v21, v19
	v_lshl_add_u32 v26, v25, 4, v255
	v_and_b32_e32 v19, 0xff, v23
	v_and_b32_e32 v23, 0xff, v0
	v_lshlrev_b16 v0, 5, v24
	v_lshl_add_u32 v25, v1, 4, v255
	v_lshl_add_u32 v21, v17, 4, v255
	v_lshlrev_b32_e32 v1, 5, v19
	v_lshlrev_b32_e32 v17, 5, v23
	v_and_b32_e32 v0, 0xffff, v0
	ds_store_b128 v26, v[2:5]
	ds_store_b128 v26, v[40:43] offset:128
	scratch_store_b32 off, v26, off offset:216 ; 4-byte Folded Spill
	ds_store_b128 v26, v[44:47] offset:256
	ds_store_b128 v21, v[6:9]
	ds_store_b128 v21, v[52:55] offset:128
	ds_store_b128 v21, v[64:67] offset:256
	ds_store_b128 v25, v[10:13]
	ds_store_b128 v25, v[68:71] offset:128
	v_add_co_u32 v0, s12, s2, v0
	scratch_store_b32 off, v25, off offset:208 ; 4-byte Folded Spill
	ds_store_b128 v25, v[72:75] offset:256
	s_waitcnt lgkmcnt(0)
	s_waitcnt_vscnt null, 0x0
	s_barrier
	buffer_gl0_inv
	s_clause 0x1
	global_load_b128 v[72:75], v1, s[2:3] offset:368
	global_load_b128 v[84:87], v1, s[2:3] offset:352
	v_add_co_ci_u32_e64 v1, null, s3, 0, s12
	s_clause 0x3
	global_load_b128 v[80:83], v17, s[2:3] offset:352
	global_load_b128 v[76:79], v17, s[2:3] offset:368
	global_load_b128 v[92:95], v[0:1], off offset:352
	global_load_b128 v[88:91], v[0:1], off offset:368
	ds_load_b128 v[0:3], v15 offset:4224
	ds_load_b128 v[4:7], v15 offset:8448
	ds_load_b128 v[8:11], v15 offset:5632
	ds_load_b128 v[40:43], v15 offset:9856
	ds_load_b128 v[44:47], v15 offset:7040
	ds_load_b128 v[52:55], v15 offset:11264
	ds_load_b128 v[64:67], v15 offset:2816
	s_waitcnt vmcnt(5) lgkmcnt(5)
	v_mul_f64 v[68:69], v[6:7], v[74:75]
	s_waitcnt vmcnt(4)
	v_mul_f64 v[12:13], v[2:3], v[86:87]
	v_mul_f64 v[70:71], v[0:1], v[86:87]
	;; [unrolled: 1-line block ×3, first 2 shown]
	s_waitcnt vmcnt(3) lgkmcnt(4)
	v_mul_f64 v[98:99], v[10:11], v[82:83]
	s_waitcnt vmcnt(2) lgkmcnt(3)
	v_mul_f64 v[100:101], v[42:43], v[78:79]
	v_mul_f64 v[102:103], v[8:9], v[82:83]
	;; [unrolled: 1-line block ×3, first 2 shown]
	s_waitcnt vmcnt(1) lgkmcnt(2)
	v_mul_f64 v[106:107], v[46:47], v[94:95]
	s_waitcnt vmcnt(0) lgkmcnt(1)
	v_mul_f64 v[108:109], v[54:55], v[90:91]
	v_mul_f64 v[110:111], v[44:45], v[94:95]
	;; [unrolled: 1-line block ×3, first 2 shown]
	v_fma_f64 v[68:69], v[4:5], v[72:73], -v[68:69]
	v_fma_f64 v[12:13], v[0:1], v[84:85], -v[12:13]
	v_fma_f64 v[70:71], v[2:3], v[84:85], v[70:71]
	v_fma_f64 v[96:97], v[6:7], v[72:73], v[96:97]
	v_fma_f64 v[8:9], v[8:9], v[80:81], -v[98:99]
	v_fma_f64 v[40:41], v[40:41], v[76:77], -v[100:101]
	v_fma_f64 v[10:11], v[10:11], v[80:81], v[102:103]
	v_fma_f64 v[42:43], v[42:43], v[76:77], v[104:105]
	;; [unrolled: 4-line block ×3, first 2 shown]
	ds_load_b128 v[0:3], v15
	ds_load_b128 v[4:7], v15 offset:1408
	s_waitcnt lgkmcnt(0)
	s_barrier
	buffer_gl0_inv
	v_add_f64 v[52:53], v[12:13], v[68:69]
	v_add_f64 v[110:111], v[0:1], v[12:13]
	;; [unrolled: 1-line block ×3, first 2 shown]
	v_add_f64 v[112:113], v[70:71], -v[96:97]
	v_add_f64 v[102:103], v[8:9], v[40:41]
	v_add_f64 v[70:71], v[2:3], v[70:71]
	;; [unrolled: 1-line block ×9, first 2 shown]
	v_add_f64 v[12:13], v[12:13], -v[68:69]
	v_add_f64 v[10:11], v[10:11], -v[42:43]
	;; [unrolled: 1-line block ×5, first 2 shown]
	v_fma_f64 v[0:1], v[52:53], -0.5, v[0:1]
	v_add_f64 v[124:125], v[110:111], v[68:69]
	v_fma_f64 v[2:3], v[54:55], -0.5, v[2:3]
	v_fma_f64 v[4:5], v[102:103], -0.5, v[4:5]
	v_add_f64 v[126:127], v[70:71], v[96:97]
	v_fma_f64 v[6:7], v[104:105], -0.5, v[6:7]
	v_add_f64 v[52:53], v[114:115], v[40:41]
	;; [unrolled: 2-line block ×4, first 2 shown]
	v_add_f64 v[110:111], v[120:121], v[100:101]
                                        ; implicit-def: $vgpr100_vgpr101
	v_fma_f64 v[40:41], v[112:113], s[0:1], v[0:1]
	v_fma_f64 v[64:65], v[112:113], s[10:11], v[0:1]
	;; [unrolled: 1-line block ×12, first 2 shown]
	v_and_b32_e32 v0, 0xffff, v18
	v_and_b32_e32 v1, 0xffff, v20
	v_mad_u16 v2, 0x48, v22, v24
	v_cmp_gt_u16_e64 s0, 0x48, v14
	s_delay_alu instid0(VALU_DEP_4) | instskip(NEXT) | instid1(VALU_DEP_4)
	v_mul_u32_u24_e32 v0, 0x48, v0
	v_mul_u32_u24_e32 v1, 0x48, v1
	s_delay_alu instid0(VALU_DEP_4) | instskip(NEXT) | instid1(VALU_DEP_3)
	v_and_b32_e32 v2, 0xffff, v2
	v_add_nc_u32_e32 v0, v0, v19
	s_delay_alu instid0(VALU_DEP_3) | instskip(NEXT) | instid1(VALU_DEP_2)
	v_add_nc_u32_e32 v1, v1, v23
	v_lshl_add_u32 v3, v0, 4, v255
	s_delay_alu instid0(VALU_DEP_2)
	v_lshl_add_u32 v1, v1, 4, v255
	v_lshl_add_u32 v0, v2, 4, v255
	ds_store_b128 v3, v[124:127]
	ds_store_b128 v3, v[40:43] offset:384
	scratch_store_b32 off, v3, off offset:212 ; 4-byte Folded Spill
	ds_store_b128 v3, v[64:67] offset:768
	ds_store_b128 v1, v[52:55]
	ds_store_b128 v1, v[104:107] offset:384
	scratch_store_b32 off, v1, off offset:204 ; 4-byte Folded Spill
	ds_store_b128 v1, v[116:119] offset:768
	;; [unrolled: 4-line block ×3, first 2 shown]
	s_waitcnt lgkmcnt(0)
	s_waitcnt_vscnt null, 0x0
	s_barrier
	buffer_gl0_inv
	s_and_saveexec_b32 s1, s0
	s_cbranch_execz .LBB0_17
; %bb.16:
	ds_load_b128 v[124:127], v15
	ds_load_b128 v[40:43], v15 offset:1152
	ds_load_b128 v[64:67], v15 offset:2304
	;; [unrolled: 1-line block ×10, first 2 shown]
.LBB0_17:
	s_or_b32 exec_lo, exec_lo, s1
	v_add_nc_u32_e32 v0, 0xffffffb8, v14
	s_mov_b32 s14, 0xf8bb580b
	s_mov_b32 s15, 0xbfe14ced
	;; [unrolled: 1-line block ×4, first 2 shown]
	v_cndmask_b32_e64 v0, v0, v14, s0
	s_mov_b32 s11, 0x3feaeb8c
	s_mov_b32 s13, 0xbfed1bb4
	s_mov_b32 s18, 0x43842ef
	s_mov_b32 s19, 0xbfefac9e
	v_mul_i32_i24_e32 v1, 0xa0, v0
	v_mul_hi_i32_i24_e32 v2, 0xa0, v0
	s_mov_b32 s16, 0x640f44db
	s_mov_b32 s17, 0xbfc2375f
	;; [unrolled: 1-line block ×3, first 2 shown]
	v_add_co_u32 v0, s1, s2, v1
	s_delay_alu instid0(VALU_DEP_1)
	v_add_co_ci_u32_e64 v1, s1, s3, v2, s1
	s_mov_b32 s2, 0xd9c712b6
	s_mov_b32 s3, 0x3fda9628
	;; [unrolled: 1-line block ×3, first 2 shown]
	s_clause 0x1
	global_load_b128 v[68:71], v[0:1], off offset:1120
	global_load_b128 v[96:99], v[0:1], off offset:1136
	s_mov_b32 s20, 0x7f775887
	s_mov_b32 s21, 0xbfe4f49e
	s_mov_b32 s24, 0xfd768dbf
	s_mov_b32 s25, 0x3fd207e7
	s_mov_b32 s27, 0xbfd207e7
	s_mov_b32 s26, s24
	s_mov_b32 s22, 0x9bcd5057
	s_mov_b32 s23, 0xbfeeb42a
	s_mov_b32 s35, 0x3fefac9e
	s_mov_b32 s34, s18
	s_mov_b32 s29, 0x3fe14ced
	s_mov_b32 s28, s14
	s_mov_b32 s37, 0x3fed1bb4
	s_mov_b32 s36, s12
	s_waitcnt vmcnt(1) lgkmcnt(9)
	v_mul_f64 v[2:3], v[42:43], v[70:71]
	s_delay_alu instid0(VALU_DEP_1) | instskip(SKIP_1) | instid1(VALU_DEP_1)
	v_fma_f64 v[173:174], v[40:41], v[68:69], -v[2:3]
	v_mul_f64 v[2:3], v[40:41], v[70:71]
	v_fma_f64 v[175:176], v[42:43], v[68:69], v[2:3]
	s_clause 0x1
	global_load_b128 v[40:43], v[0:1], off offset:1264
	global_load_b128 v[44:47], v[0:1], off offset:1248
	s_waitcnt vmcnt(1) lgkmcnt(0)
	v_mul_f64 v[2:3], v[100:101], v[42:43]
	s_delay_alu instid0(VALU_DEP_1) | instskip(SKIP_1) | instid1(VALU_DEP_2)
	v_fma_f64 v[19:20], v[102:103], v[40:41], v[2:3]
	v_mul_f64 v[2:3], v[102:103], v[42:43]
	v_add_f64 v[239:240], v[175:176], -v[19:20]
	s_delay_alu instid0(VALU_DEP_2) | instskip(SKIP_1) | instid1(VALU_DEP_3)
	v_fma_f64 v[22:23], v[100:101], v[40:41], -v[2:3]
	v_mul_f64 v[2:3], v[66:67], v[98:99]
	v_mul_f64 v[225:226], v[239:240], s[14:15]
	s_delay_alu instid0(VALU_DEP_3) | instskip(NEXT) | instid1(VALU_DEP_3)
	v_add_f64 v[233:234], v[173:174], v[22:23]
	v_fma_f64 v[136:137], v[64:65], v[96:97], -v[2:3]
	v_mul_f64 v[2:3], v[64:65], v[98:99]
	v_add_f64 v[4:5], v[173:174], -v[22:23]
	s_delay_alu instid0(VALU_DEP_2) | instskip(SKIP_2) | instid1(VALU_DEP_1)
	v_fma_f64 v[138:139], v[66:67], v[96:97], v[2:3]
	s_waitcnt vmcnt(0)
	v_mul_f64 v[2:3], v[48:49], v[46:47]
	v_fma_f64 v[132:133], v[50:51], v[44:45], v[2:3]
	v_mul_f64 v[2:3], v[50:51], v[46:47]
	s_delay_alu instid0(VALU_DEP_2) | instskip(NEXT) | instid1(VALU_DEP_2)
	v_add_f64 v[177:178], v[138:139], -v[132:133]
	v_fma_f64 v[134:135], v[48:49], v[44:45], -v[2:3]
	s_clause 0x1
	global_load_b128 v[48:51], v[0:1], off offset:1152
	global_load_b128 v[100:103], v[0:1], off offset:1168
	v_add_f64 v[179:180], v[138:139], v[132:133]
	v_mul_f64 v[24:25], v[177:178], s[12:13]
	v_add_f64 v[169:170], v[136:137], v[134:135]
	v_add_f64 v[187:188], v[136:137], -v[134:135]
	v_mul_f64 v[221:222], v[177:178], s[30:31]
	v_mul_f64 v[235:236], v[177:178], s[24:25]
	s_delay_alu instid0(VALU_DEP_3) | instskip(SKIP_2) | instid1(VALU_DEP_3)
	v_mul_f64 v[181:182], v[187:188], s[12:13]
	v_mul_f64 v[227:228], v[187:188], s[30:31]
	;; [unrolled: 1-line block ×3, first 2 shown]
	v_fma_f64 v[10:11], v[179:180], s[2:3], -v[181:182]
	s_delay_alu instid0(VALU_DEP_2) | instskip(SKIP_2) | instid1(VALU_DEP_1)
	v_fma_f64 v[156:157], v[179:180], s[22:23], -v[245:246]
	s_waitcnt vmcnt(1)
	v_mul_f64 v[2:3], v[54:55], v[50:51]
	v_fma_f64 v[140:141], v[52:53], v[48:49], -v[2:3]
	v_mul_f64 v[2:3], v[52:53], v[50:51]
	s_delay_alu instid0(VALU_DEP_1)
	v_fma_f64 v[142:143], v[54:55], v[48:49], v[2:3]
	s_clause 0x1
	global_load_b128 v[52:55], v[0:1], off offset:1232
	global_load_b128 v[64:67], v[0:1], off offset:1216
	s_waitcnt vmcnt(1)
	v_mul_f64 v[2:3], v[120:121], v[54:55]
	s_delay_alu instid0(VALU_DEP_1) | instskip(SKIP_1) | instid1(VALU_DEP_2)
	v_fma_f64 v[144:145], v[122:123], v[52:53], v[2:3]
	v_mul_f64 v[2:3], v[122:123], v[54:55]
	v_add_f64 v[197:198], v[142:143], -v[144:145]
	s_delay_alu instid0(VALU_DEP_2)
	v_fma_f64 v[146:147], v[120:121], v[52:53], -v[2:3]
	v_mul_f64 v[2:3], v[106:107], v[102:103]
	v_add_f64 v[189:190], v[142:143], v[144:145]
	v_fma_f64 v[120:121], v[169:170], s[22:23], v[235:236]
	v_mul_f64 v[185:186], v[197:198], s[18:19]
	v_add_f64 v[183:184], v[140:141], v[146:147]
	v_fma_f64 v[150:151], v[104:105], v[100:101], -v[2:3]
	v_mul_f64 v[2:3], v[104:105], v[102:103]
	v_add_f64 v[199:200], v[140:141], -v[146:147]
	v_mul_f64 v[223:224], v[197:198], s[24:25]
	v_mul_f64 v[247:248], v[197:198], s[36:37]
	s_delay_alu instid0(VALU_DEP_4)
	v_fma_f64 v[154:155], v[106:107], v[100:101], v[2:3]
	s_waitcnt vmcnt(0)
	v_mul_f64 v[2:3], v[114:115], v[66:67]
	v_mul_f64 v[191:192], v[199:200], s[18:19]
	;; [unrolled: 1-line block ×4, first 2 shown]
	s_delay_alu instid0(VALU_DEP_4) | instskip(SKIP_1) | instid1(VALU_DEP_2)
	v_fma_f64 v[148:149], v[112:113], v[64:65], -v[2:3]
	v_mul_f64 v[2:3], v[112:113], v[66:67]
	v_add_f64 v[193:194], v[150:151], v[148:149]
	s_delay_alu instid0(VALU_DEP_2)
	v_fma_f64 v[152:153], v[114:115], v[64:65], v[2:3]
	s_clause 0x1
	global_load_b128 v[104:107], v[0:1], off offset:1184
	global_load_b128 v[112:115], v[0:1], off offset:1200
	v_fma_f64 v[2:3], v[169:170], s[2:3], v[24:25]
	v_add_f64 v[215:216], v[150:151], -v[148:149]
	v_add_f64 v[209:210], v[154:155], -v[152:153]
	v_add_f64 v[205:206], v[154:155], v[152:153]
	s_delay_alu instid0(VALU_DEP_3) | instskip(SKIP_1) | instid1(VALU_DEP_4)
	v_mul_f64 v[207:208], v[215:216], s[30:31]
	v_mul_f64 v[241:242], v[215:216], s[34:35]
	;; [unrolled: 1-line block ×5, first 2 shown]
	s_waitcnt vmcnt(1)
	v_mul_f64 v[0:1], v[118:119], v[106:107]
	s_delay_alu instid0(VALU_DEP_1) | instskip(SKIP_2) | instid1(VALU_DEP_2)
	v_fma_f64 v[161:162], v[116:117], v[104:105], -v[0:1]
	v_mul_f64 v[0:1], v[116:117], v[106:107]
	v_fma_f64 v[116:117], v[179:180], s[20:21], -v[227:228]
	v_fma_f64 v[165:166], v[118:119], v[104:105], v[0:1]
	s_waitcnt vmcnt(0)
	v_mul_f64 v[0:1], v[110:111], v[114:115]
	s_delay_alu instid0(VALU_DEP_1) | instskip(SKIP_1) | instid1(VALU_DEP_2)
	v_fma_f64 v[163:164], v[108:109], v[112:113], -v[0:1]
	v_mul_f64 v[0:1], v[108:109], v[114:115]
	v_add_f64 v[201:202], v[161:162], v[163:164]
	s_delay_alu instid0(VALU_DEP_2) | instskip(SKIP_2) | instid1(VALU_DEP_3)
	v_fma_f64 v[167:168], v[110:111], v[112:113], v[0:1]
	v_fma_f64 v[0:1], v[233:234], s[10:11], v[225:226]
	v_add_f64 v[219:220], v[161:162], -v[163:164]
	v_add_f64 v[217:218], v[165:166], -v[167:168]
	s_delay_alu instid0(VALU_DEP_3) | instskip(SKIP_1) | instid1(VALU_DEP_4)
	v_add_f64 v[0:1], v[124:125], v[0:1]
	v_add_f64 v[211:212], v[165:166], v[167:168]
	v_mul_f64 v[213:214], v[219:220], s[26:27]
	v_mul_f64 v[243:244], v[219:220], s[28:29]
	;; [unrolled: 1-line block ×3, first 2 shown]
	v_add_f64 v[6:7], v[2:3], v[0:1]
	v_add_f64 v[2:3], v[175:176], v[19:20]
	v_mul_f64 v[0:1], v[4:5], s[14:15]
	v_mul_f64 v[231:232], v[217:218], s[28:29]
	v_mul_f64 v[249:250], v[217:218], s[30:31]
	s_delay_alu instid0(VALU_DEP_3) | instskip(NEXT) | instid1(VALU_DEP_1)
	v_fma_f64 v[8:9], v[2:3], s[10:11], -v[0:1]
	v_add_f64 v[8:9], v[126:127], v[8:9]
	s_delay_alu instid0(VALU_DEP_1) | instskip(SKIP_1) | instid1(VALU_DEP_1)
	v_add_f64 v[8:9], v[10:11], v[8:9]
	v_fma_f64 v[10:11], v[183:184], s[16:17], v[185:186]
	v_add_f64 v[6:7], v[10:11], v[6:7]
	v_fma_f64 v[10:11], v[189:190], s[16:17], -v[191:192]
	s_delay_alu instid0(VALU_DEP_1) | instskip(SKIP_1) | instid1(VALU_DEP_1)
	v_add_f64 v[8:9], v[10:11], v[8:9]
	v_fma_f64 v[10:11], v[193:194], s[20:21], v[195:196]
	v_add_f64 v[6:7], v[10:11], v[6:7]
	v_fma_f64 v[10:11], v[205:206], s[20:21], -v[207:208]
	;; [unrolled: 5-line block ×3, first 2 shown]
	v_fma_f64 v[10:11], v[169:170], s[20:21], v[221:222]
	s_delay_alu instid0(VALU_DEP_2) | instskip(SKIP_1) | instid1(VALU_DEP_1)
	v_add_f64 v[110:111], v[6:7], v[8:9]
	v_mul_f64 v[6:7], v[239:240], s[12:13]
	v_fma_f64 v[8:9], v[233:234], s[2:3], v[6:7]
	s_delay_alu instid0(VALU_DEP_1) | instskip(NEXT) | instid1(VALU_DEP_1)
	v_add_f64 v[8:9], v[124:125], v[8:9]
	v_add_f64 v[10:11], v[10:11], v[8:9]
	v_mul_f64 v[8:9], v[4:5], s[12:13]
	s_delay_alu instid0(VALU_DEP_1) | instskip(NEXT) | instid1(VALU_DEP_1)
	v_fma_f64 v[12:13], v[2:3], s[2:3], -v[8:9]
	v_add_f64 v[12:13], v[126:127], v[12:13]
	s_delay_alu instid0(VALU_DEP_1) | instskip(SKIP_1) | instid1(VALU_DEP_1)
	v_add_f64 v[12:13], v[116:117], v[12:13]
	v_fma_f64 v[116:117], v[183:184], s[22:23], v[223:224]
	v_add_f64 v[10:11], v[116:117], v[10:11]
	v_fma_f64 v[116:117], v[189:190], s[22:23], -v[237:238]
	s_delay_alu instid0(VALU_DEP_1) | instskip(SKIP_1) | instid1(VALU_DEP_1)
	v_add_f64 v[12:13], v[116:117], v[12:13]
	v_fma_f64 v[116:117], v[193:194], s[16:17], v[229:230]
	v_add_f64 v[10:11], v[116:117], v[10:11]
	v_fma_f64 v[116:117], v[205:206], s[16:17], -v[241:242]
	;; [unrolled: 5-line block ×3, first 2 shown]
	s_delay_alu instid0(VALU_DEP_1) | instskip(SKIP_1) | instid1(VALU_DEP_1)
	v_add_f64 v[118:119], v[10:11], v[12:13]
	v_mul_f64 v[10:11], v[239:240], s[18:19]
	v_fma_f64 v[12:13], v[233:234], s[16:17], v[10:11]
	s_delay_alu instid0(VALU_DEP_1) | instskip(NEXT) | instid1(VALU_DEP_1)
	v_add_f64 v[12:13], v[124:125], v[12:13]
	v_add_f64 v[120:121], v[120:121], v[12:13]
	v_mul_f64 v[12:13], v[4:5], s[18:19]
	s_delay_alu instid0(VALU_DEP_1) | instskip(NEXT) | instid1(VALU_DEP_1)
	v_fma_f64 v[122:123], v[2:3], s[16:17], -v[12:13]
	v_add_f64 v[122:123], v[126:127], v[122:123]
	s_delay_alu instid0(VALU_DEP_1) | instskip(SKIP_1) | instid1(VALU_DEP_1)
	v_add_f64 v[122:123], v[156:157], v[122:123]
	v_fma_f64 v[156:157], v[183:184], s[2:3], v[247:248]
	v_add_f64 v[120:121], v[156:157], v[120:121]
	v_fma_f64 v[156:157], v[189:190], s[2:3], -v[253:254]
	s_delay_alu instid0(VALU_DEP_1) | instskip(SKIP_1) | instid1(VALU_DEP_1)
	v_add_f64 v[122:123], v[156:157], v[122:123]
	v_fma_f64 v[156:157], v[193:194], s[10:11], v[251:252]
	v_add_f64 v[120:121], v[156:157], v[120:121]
	v_mul_f64 v[156:157], v[215:216], s[14:15]
	s_delay_alu instid0(VALU_DEP_1) | instskip(NEXT) | instid1(VALU_DEP_1)
	v_fma_f64 v[158:159], v[205:206], s[10:11], -v[156:157]
	v_add_f64 v[122:123], v[158:159], v[122:123]
	v_fma_f64 v[158:159], v[201:202], s[20:21], v[249:250]
	s_delay_alu instid0(VALU_DEP_1) | instskip(SKIP_1) | instid1(VALU_DEP_1)
	v_add_f64 v[120:121], v[158:159], v[120:121]
	v_mul_f64 v[158:159], v[219:220], s[30:31]
	v_fma_f64 v[17:18], v[211:212], s[20:21], -v[158:159]
	s_delay_alu instid0(VALU_DEP_1)
	v_add_f64 v[122:123], v[17:18], v[122:123]
	s_and_saveexec_b32 s1, s0
	s_cbranch_execz .LBB0_19
; %bb.18:
	v_mul_f64 v[17:18], v[2:3], s[22:23]
	s_clause 0x1
	scratch_store_b64 off, v[19:20], off offset:224
	scratch_store_b64 off, v[22:23], off offset:232
	v_mul_f64 v[22:23], v[2:3], s[20:21]
	s_mov_b32 s39, 0x3fe82f19
	s_mov_b32 s38, s30
	v_add_f64 v[28:29], v[124:125], v[173:174]
	scratch_store_b64 off, v[24:25], off offset:240 ; 8-byte Folded Spill
	v_mul_f64 v[128:129], v[211:212], s[16:17]
	v_mul_f64 v[130:131], v[217:218], s[18:19]
	v_fma_f64 v[19:20], v[4:5], s[24:25], v[17:18]
	v_fma_f64 v[17:18], v[4:5], s[26:27], v[17:18]
	;; [unrolled: 1-line block ×4, first 2 shown]
	v_mul_f64 v[22:23], v[2:3], s[16:17]
	scratch_store_b64 off, v[28:29], off offset:248 ; 8-byte Folded Spill
	v_add_f64 v[19:20], v[126:127], v[19:20]
	v_add_f64 v[17:18], v[126:127], v[17:18]
	;; [unrolled: 1-line block ×5, first 2 shown]
	v_mul_f64 v[22:23], v[2:3], s[2:3]
	v_mul_f64 v[2:3], v[2:3], s[10:11]
	;; [unrolled: 1-line block ×3, first 2 shown]
	s_delay_alu instid0(VALU_DEP_4) | instskip(NEXT) | instid1(VALU_DEP_4)
	v_add_f64 v[12:13], v[126:127], v[12:13]
	v_add_f64 v[8:9], v[8:9], v[22:23]
	v_mul_f64 v[22:23], v[233:234], s[2:3]
	v_add_f64 v[0:1], v[0:1], v[2:3]
	v_mul_f64 v[2:3], v[239:240], s[26:27]
	s_delay_alu instid0(VALU_DEP_4) | instskip(NEXT) | instid1(VALU_DEP_4)
	v_add_f64 v[8:9], v[126:127], v[8:9]
	v_add_f64 v[6:7], v[22:23], -v[6:7]
	v_mul_f64 v[22:23], v[233:234], s[16:17]
	s_delay_alu instid0(VALU_DEP_4)
	v_fma_f64 v[26:27], v[233:234], s[22:23], v[2:3]
	v_fma_f64 v[2:3], v[233:234], s[22:23], -v[2:3]
	v_add_f64 v[28:29], v[126:127], v[0:1]
	v_fma_f64 v[0:1], v[187:188], s[14:15], v[4:5]
	v_fma_f64 v[4:5], v[187:188], s[28:29], v[4:5]
	v_add_f64 v[10:11], v[22:23], -v[10:11]
	v_mul_f64 v[22:23], v[239:240], s[30:31]
	v_add_f64 v[26:27], v[124:125], v[26:27]
	v_add_f64 v[30:31], v[124:125], v[2:3]
	;; [unrolled: 1-line block ×4, first 2 shown]
	v_fma_f64 v[17:18], v[201:202], s[16:17], -v[130:131]
	v_add_f64 v[171:172], v[124:125], v[10:11]
	v_fma_f64 v[239:240], v[233:234], s[20:21], -v[22:23]
	v_fma_f64 v[22:23], v[233:234], s[20:21], v[22:23]
	v_mul_f64 v[233:234], v[233:234], s[10:11]
	v_mul_f64 v[10:11], v[189:190], s[20:21]
	s_delay_alu instid0(VALU_DEP_4) | instskip(NEXT) | instid1(VALU_DEP_4)
	v_add_f64 v[239:240], v[124:125], v[239:240]
	v_add_f64 v[22:23], v[124:125], v[22:23]
	s_delay_alu instid0(VALU_DEP_4)
	v_add_f64 v[225:226], v[233:234], -v[225:226]
	v_add_f64 v[233:234], v[126:127], v[175:176]
	v_add_f64 v[175:176], v[124:125], v[6:7]
	v_mul_f64 v[6:7], v[177:178], s[28:29]
	v_fma_f64 v[19:20], v[199:200], s[38:39], v[10:11]
	v_fma_f64 v[10:11], v[199:200], s[30:31], v[10:11]
	v_add_f64 v[225:226], v[124:125], v[225:226]
	s_delay_alu instid0(VALU_DEP_4) | instskip(NEXT) | instid1(VALU_DEP_4)
	v_fma_f64 v[2:3], v[169:170], s[10:11], v[6:7]
	v_add_f64 v[0:1], v[19:20], v[0:1]
	v_mul_f64 v[19:20], v[197:198], s[30:31]
	v_fma_f64 v[6:7], v[169:170], s[10:11], -v[6:7]
	v_add_f64 v[4:5], v[10:11], v[4:5]
	v_add_f64 v[2:3], v[2:3], v[26:27]
	s_delay_alu instid0(VALU_DEP_4) | instskip(NEXT) | instid1(VALU_DEP_4)
	v_fma_f64 v[26:27], v[183:184], s[20:21], v[19:20]
	v_add_f64 v[6:7], v[6:7], v[30:31]
	v_fma_f64 v[10:11], v[183:184], s[20:21], -v[19:20]
	v_mul_f64 v[19:20], v[189:190], s[22:23]
	v_mul_f64 v[30:31], v[205:206], s[16:17]
	v_add_f64 v[2:3], v[26:27], v[2:3]
	v_mul_f64 v[26:27], v[205:206], s[2:3]
	v_add_f64 v[6:7], v[10:11], v[6:7]
	v_add_f64 v[19:20], v[237:238], v[19:20]
	;; [unrolled: 1-line block ×3, first 2 shown]
	s_delay_alu instid0(VALU_DEP_4) | instskip(SKIP_2) | instid1(VALU_DEP_3)
	v_fma_f64 v[124:125], v[215:216], s[12:13], v[26:27]
	v_fma_f64 v[10:11], v[215:216], s[36:37], v[26:27]
	v_mul_f64 v[26:27], v[183:184], s[22:23]
	v_add_f64 v[0:1], v[124:125], v[0:1]
	v_mul_f64 v[124:125], v[209:210], s[36:37]
	s_delay_alu instid0(VALU_DEP_4) | instskip(NEXT) | instid1(VALU_DEP_4)
	v_add_f64 v[4:5], v[10:11], v[4:5]
	v_add_f64 v[26:27], v[26:27], -v[223:224]
	s_delay_alu instid0(VALU_DEP_3) | instskip(SKIP_2) | instid1(VALU_DEP_3)
	v_fma_f64 v[10:11], v[193:194], s[2:3], -v[124:125]
	v_fma_f64 v[126:127], v[193:194], s[2:3], v[124:125]
	v_mul_f64 v[124:125], v[193:194], s[16:17]
	v_add_f64 v[10:11], v[10:11], v[6:7]
	v_fma_f64 v[6:7], v[219:220], s[18:19], v[128:129]
	s_delay_alu instid0(VALU_DEP_3) | instskip(SKIP_2) | instid1(VALU_DEP_4)
	v_add_f64 v[124:125], v[124:125], -v[229:230]
	v_add_f64 v[126:127], v[126:127], v[2:3]
	v_fma_f64 v[2:3], v[219:220], s[34:35], v[128:129]
	v_add_f64 v[6:7], v[6:7], v[4:5]
	v_add_f64 v[4:5], v[17:18], v[10:11]
	v_mul_f64 v[10:11], v[179:180], s[20:21]
	v_mul_f64 v[17:18], v[169:170], s[20:21]
	v_add_f64 v[2:3], v[2:3], v[0:1]
	v_fma_f64 v[0:1], v[201:202], s[16:17], v[130:131]
	s_delay_alu instid0(VALU_DEP_4) | instskip(NEXT) | instid1(VALU_DEP_4)
	v_add_f64 v[10:11], v[227:228], v[10:11]
	v_add_f64 v[17:18], v[17:18], -v[221:222]
	s_delay_alu instid0(VALU_DEP_3) | instskip(SKIP_1) | instid1(VALU_DEP_4)
	v_add_f64 v[0:1], v[0:1], v[126:127]
	v_mul_f64 v[126:127], v[193:194], s[10:11]
	v_add_f64 v[8:9], v[10:11], v[8:9]
	s_delay_alu instid0(VALU_DEP_4)
	v_add_f64 v[10:11], v[17:18], v[175:176]
	v_mul_f64 v[17:18], v[211:212], s[10:11]
	v_mul_f64 v[175:176], v[211:212], s[2:3]
	v_add_f64 v[126:127], v[126:127], -v[251:252]
	v_add_f64 v[8:9], v[19:20], v[8:9]
	v_add_f64 v[10:11], v[26:27], v[10:11]
	v_add_f64 v[17:18], v[243:244], v[17:18]
	v_mul_f64 v[19:20], v[201:202], s[10:11]
	s_delay_alu instid0(VALU_DEP_4) | instskip(NEXT) | instid1(VALU_DEP_4)
	v_add_f64 v[8:9], v[30:31], v[8:9]
	v_add_f64 v[26:27], v[124:125], v[10:11]
	v_mul_f64 v[30:31], v[183:184], s[2:3]
	s_delay_alu instid0(VALU_DEP_4)
	v_add_f64 v[19:20], v[19:20], -v[231:232]
	v_mul_f64 v[124:125], v[205:206], s[10:11]
	v_add_f64 v[10:11], v[17:18], v[8:9]
	v_mul_f64 v[17:18], v[179:180], s[22:23]
	v_add_f64 v[30:31], v[30:31], -v[247:248]
	v_add_f64 v[8:9], v[19:20], v[26:27]
	v_mul_f64 v[19:20], v[169:170], s[22:23]
	v_mul_f64 v[26:27], v[189:190], s[2:3]
	v_add_f64 v[124:125], v[156:157], v[124:125]
	v_add_f64 v[17:18], v[245:246], v[17:18]
	s_delay_alu instid0(VALU_DEP_4) | instskip(NEXT) | instid1(VALU_DEP_4)
	v_add_f64 v[19:20], v[19:20], -v[235:236]
	v_add_f64 v[26:27], v[253:254], v[26:27]
	s_delay_alu instid0(VALU_DEP_3) | instskip(NEXT) | instid1(VALU_DEP_3)
	v_add_f64 v[12:13], v[17:18], v[12:13]
	v_add_f64 v[17:18], v[19:20], v[171:172]
	v_mul_f64 v[19:20], v[211:212], s[20:21]
	v_mul_f64 v[171:172], v[209:210], s[26:27]
	s_delay_alu instid0(VALU_DEP_4)
	v_add_f64 v[12:13], v[26:27], v[12:13]
	v_mul_f64 v[26:27], v[201:202], s[20:21]
	v_add_f64 v[17:18], v[30:31], v[17:18]
	v_add_f64 v[19:20], v[158:159], v[19:20]
	v_mul_f64 v[30:31], v[189:190], s[10:11]
	v_add_f64 v[12:13], v[124:125], v[12:13]
	v_add_f64 v[26:27], v[26:27], -v[249:250]
	v_add_f64 v[17:18], v[126:127], v[17:18]
	s_delay_alu instid0(VALU_DEP_4) | instskip(NEXT) | instid1(VALU_DEP_4)
	v_fma_f64 v[128:129], v[199:200], s[14:15], v[30:31]
	v_add_f64 v[126:127], v[19:20], v[12:13]
	v_mul_f64 v[12:13], v[179:180], s[16:17]
	v_mul_f64 v[19:20], v[177:178], s[34:35]
	v_add_f64 v[124:125], v[26:27], v[17:18]
	s_delay_alu instid0(VALU_DEP_3) | instskip(NEXT) | instid1(VALU_DEP_3)
	v_fma_f64 v[17:18], v[187:188], s[34:35], v[12:13]
	v_fma_f64 v[26:27], v[169:170], s[16:17], -v[19:20]
	v_fma_f64 v[12:13], v[187:188], s[18:19], v[12:13]
	v_fma_f64 v[19:20], v[169:170], s[16:17], v[19:20]
	s_delay_alu instid0(VALU_DEP_4) | instskip(NEXT) | instid1(VALU_DEP_4)
	v_add_f64 v[17:18], v[17:18], v[173:174]
	v_add_f64 v[26:27], v[26:27], v[239:240]
	v_mul_f64 v[173:174], v[217:218], s[36:37]
	v_add_f64 v[12:13], v[12:13], v[24:25]
	v_add_f64 v[19:20], v[19:20], v[22:23]
	v_mul_f64 v[22:23], v[183:184], s[16:17]
	v_mul_f64 v[24:25], v[205:206], s[20:21]
	v_add_f64 v[17:18], v[128:129], v[17:18]
	v_mul_f64 v[128:129], v[197:198], s[14:15]
	s_delay_alu instid0(VALU_DEP_4) | instskip(NEXT) | instid1(VALU_DEP_4)
	v_add_f64 v[22:23], v[22:23], -v[185:186]
	v_add_f64 v[24:25], v[207:208], v[24:25]
	s_delay_alu instid0(VALU_DEP_3) | instskip(NEXT) | instid1(VALU_DEP_1)
	v_fma_f64 v[130:131], v[183:184], s[10:11], -v[128:129]
	v_add_f64 v[26:27], v[130:131], v[26:27]
	v_mul_f64 v[130:131], v[205:206], s[22:23]
	s_delay_alu instid0(VALU_DEP_1) | instskip(NEXT) | instid1(VALU_DEP_1)
	v_fma_f64 v[156:157], v[215:216], s[26:27], v[130:131]
	v_add_f64 v[17:18], v[156:157], v[17:18]
	v_fma_f64 v[156:157], v[193:194], s[22:23], -v[171:172]
	s_delay_alu instid0(VALU_DEP_1) | instskip(SKIP_1) | instid1(VALU_DEP_1)
	v_add_f64 v[26:27], v[156:157], v[26:27]
	v_fma_f64 v[156:157], v[219:220], s[36:37], v[175:176]
	v_add_f64 v[158:159], v[156:157], v[17:18]
	v_fma_f64 v[17:18], v[201:202], s[2:3], -v[173:174]
	s_delay_alu instid0(VALU_DEP_1) | instskip(SKIP_3) | instid1(VALU_DEP_3)
	v_add_f64 v[156:157], v[17:18], v[26:27]
	v_fma_f64 v[17:18], v[199:200], s[28:29], v[30:31]
	v_fma_f64 v[26:27], v[215:216], s[24:25], v[130:131]
	;; [unrolled: 1-line block ×3, first 2 shown]
	v_add_f64 v[12:13], v[17:18], v[12:13]
	v_fma_f64 v[17:18], v[183:184], s[10:11], v[128:129]
	s_delay_alu instid0(VALU_DEP_2) | instskip(NEXT) | instid1(VALU_DEP_2)
	v_add_f64 v[12:13], v[26:27], v[12:13]
	v_add_f64 v[17:18], v[17:18], v[19:20]
	v_fma_f64 v[19:20], v[193:194], s[22:23], v[171:172]
	v_mul_f64 v[26:27], v[193:194], s[20:21]
	s_delay_alu instid0(VALU_DEP_4) | instskip(SKIP_1) | instid1(VALU_DEP_4)
	v_add_f64 v[175:176], v[30:31], v[12:13]
	v_mul_f64 v[12:13], v[179:180], s[2:3]
	v_add_f64 v[17:18], v[19:20], v[17:18]
	v_fma_f64 v[19:20], v[201:202], s[2:3], v[173:174]
	v_add_f64 v[26:27], v[26:27], -v[195:196]
	s_delay_alu instid0(VALU_DEP_4) | instskip(NEXT) | instid1(VALU_DEP_3)
	v_add_f64 v[12:13], v[181:182], v[12:13]
	v_add_f64 v[173:174], v[19:20], v[17:18]
	scratch_load_b64 v[19:20], off, off offset:240 ; 8-byte Folded Reload
	v_mul_f64 v[17:18], v[169:170], s[2:3]
	v_add_f64 v[12:13], v[12:13], v[28:29]
	v_mul_f64 v[28:29], v[211:212], s[22:23]
	s_delay_alu instid0(VALU_DEP_1) | instskip(SKIP_1) | instid1(VALU_DEP_4)
	v_add_f64 v[28:29], v[213:214], v[28:29]
	s_waitcnt vmcnt(0)
	v_add_f64 v[17:18], v[17:18], -v[19:20]
	v_mul_f64 v[19:20], v[189:190], s[16:17]
	s_delay_alu instid0(VALU_DEP_2) | instskip(NEXT) | instid1(VALU_DEP_2)
	v_add_f64 v[17:18], v[17:18], v[225:226]
	v_add_f64 v[19:20], v[191:192], v[19:20]
	s_delay_alu instid0(VALU_DEP_2) | instskip(NEXT) | instid1(VALU_DEP_2)
	v_add_f64 v[17:18], v[22:23], v[17:18]
	v_add_f64 v[12:13], v[19:20], v[12:13]
	v_mul_f64 v[19:20], v[201:202], s[22:23]
	s_delay_alu instid0(VALU_DEP_3) | instskip(NEXT) | instid1(VALU_DEP_3)
	v_add_f64 v[17:18], v[26:27], v[17:18]
	v_add_f64 v[12:13], v[24:25], v[12:13]
	s_delay_alu instid0(VALU_DEP_3) | instskip(NEXT) | instid1(VALU_DEP_2)
	v_add_f64 v[19:20], v[19:20], -v[203:204]
	v_add_f64 v[171:172], v[28:29], v[12:13]
	s_delay_alu instid0(VALU_DEP_2) | instskip(SKIP_4) | instid1(VALU_DEP_1)
	v_add_f64 v[169:170], v[19:20], v[17:18]
	s_clause 0x1
	scratch_load_b64 v[17:18], off, off offset:248
	scratch_load_b64 v[19:20], off, off offset:224
	v_add_f64 v[12:13], v[233:234], v[138:139]
	v_add_f64 v[12:13], v[12:13], v[142:143]
	s_delay_alu instid0(VALU_DEP_1) | instskip(NEXT) | instid1(VALU_DEP_1)
	v_add_f64 v[12:13], v[12:13], v[154:155]
	v_add_f64 v[12:13], v[12:13], v[165:166]
	s_delay_alu instid0(VALU_DEP_1) | instskip(NEXT) | instid1(VALU_DEP_1)
	;; [unrolled: 3-line block ×3, first 2 shown]
	v_add_f64 v[12:13], v[12:13], v[144:145]
	v_add_f64 v[12:13], v[12:13], v[132:133]
	s_waitcnt vmcnt(1)
	v_add_f64 v[17:18], v[17:18], v[136:137]
	s_waitcnt vmcnt(0)
	s_delay_alu instid0(VALU_DEP_2) | instskip(SKIP_2) | instid1(VALU_DEP_1)
	v_add_f64 v[132:133], v[12:13], v[19:20]
	scratch_load_b64 v[12:13], off, off offset:232 ; 8-byte Folded Reload
	v_add_f64 v[17:18], v[17:18], v[140:141]
	v_add_f64 v[17:18], v[17:18], v[150:151]
	s_delay_alu instid0(VALU_DEP_1) | instskip(NEXT) | instid1(VALU_DEP_1)
	v_add_f64 v[17:18], v[17:18], v[161:162]
	v_add_f64 v[17:18], v[17:18], v[163:164]
	s_delay_alu instid0(VALU_DEP_1) | instskip(NEXT) | instid1(VALU_DEP_1)
	v_add_f64 v[17:18], v[17:18], v[148:149]
	v_add_f64 v[17:18], v[17:18], v[146:147]
	s_delay_alu instid0(VALU_DEP_1) | instskip(SKIP_1) | instid1(VALU_DEP_1)
	v_add_f64 v[17:18], v[17:18], v[134:135]
	s_waitcnt vmcnt(0)
	v_add_f64 v[130:131], v[17:18], v[12:13]
	v_lshl_add_u32 v12, v14, 4, v255
	ds_store_b128 v12, v[8:11] offset:2304
	ds_store_b128 v12, v[120:123] offset:9216
	;; [unrolled: 1-line block ×9, first 2 shown]
	ds_store_b128 v15, v[130:133]
	ds_store_b128 v12, v[108:111] offset:11520
.LBB0_19:
	s_or_b32 exec_lo, exec_lo, s1
	v_add_co_u32 v2, s1, 0x3000, v160
	s_delay_alu instid0(VALU_DEP_1) | instskip(SKIP_1) | instid1(VALU_DEP_1)
	v_add_co_ci_u32_e64 v3, s1, 0, v16, s1
	v_add_co_u32 v17, s1, 0x4000, v160
	v_add_co_ci_u32_e64 v18, s1, 0, v16, s1
	v_add_co_u32 v0, s1, 0x3180, v160
	s_delay_alu instid0(VALU_DEP_1)
	v_add_co_ci_u32_e64 v1, s1, 0, v16, s1
	s_waitcnt lgkmcnt(0)
	s_waitcnt_vscnt null, 0x0
	s_barrier
	buffer_gl0_inv
	s_clause 0x2
	global_load_b128 v[2:5], v[2:3], off offset:384
	global_load_b128 v[6:9], v[17:18], off offset:2624
	;; [unrolled: 1-line block ×3, first 2 shown]
	v_add_co_u32 v19, s1, 0x5000, v160
	s_delay_alu instid0(VALU_DEP_1)
	v_add_co_ci_u32_e64 v20, s1, 0, v16, s1
	s_clause 0x4
	global_load_b128 v[124:127], v[17:18], off offset:4032
	global_load_b128 v[128:131], v[0:1], off offset:2816
	;; [unrolled: 1-line block ×5, first 2 shown]
	ds_load_b128 v[144:147], v15
	ds_load_b128 v[148:151], v15 offset:6336
	ds_load_b128 v[152:155], v15 offset:1408
	;; [unrolled: 1-line block ×7, first 2 shown]
	s_waitcnt vmcnt(7) lgkmcnt(7)
	v_mul_f64 v[16:17], v[146:147], v[4:5]
	v_mul_f64 v[4:5], v[144:145], v[4:5]
	s_waitcnt vmcnt(6) lgkmcnt(6)
	v_mul_f64 v[18:19], v[150:151], v[8:9]
	v_mul_f64 v[8:9], v[148:149], v[8:9]
	;; [unrolled: 3-line block ×8, first 2 shown]
	v_fma_f64 v[142:143], v[144:145], v[2:3], -v[16:17]
	v_fma_f64 v[144:145], v[146:147], v[2:3], v[4:5]
	v_fma_f64 v[2:3], v[148:149], v[6:7], -v[18:19]
	v_fma_f64 v[4:5], v[150:151], v[6:7], v[8:9]
	v_fma_f64 v[6:7], v[152:153], v[10:11], -v[22:23]
	v_fma_f64 v[8:9], v[154:155], v[10:11], v[12:13]
	v_fma_f64 v[10:11], v[156:157], v[124:125], -v[24:25]
	v_fma_f64 v[12:13], v[158:159], v[124:125], v[26:27]
	v_fma_f64 v[124:125], v[160:161], v[128:129], -v[28:29]
	v_fma_f64 v[126:127], v[162:163], v[128:129], v[30:31]
	v_fma_f64 v[128:129], v[164:165], v[132:133], -v[130:131]
	v_fma_f64 v[130:131], v[166:167], v[132:133], v[134:135]
	v_fma_f64 v[132:133], v[168:169], v[136:137], -v[176:177]
	v_fma_f64 v[134:135], v[170:171], v[136:137], v[138:139]
	v_fma_f64 v[136:137], v[172:173], v[140:141], -v[178:179]
	v_fma_f64 v[138:139], v[174:175], v[140:141], v[180:181]
	ds_store_b128 v15, v[142:145]
	ds_store_b128 v15, v[6:9] offset:1408
	ds_store_b128 v15, v[2:5] offset:6336
	;; [unrolled: 1-line block ×7, first 2 shown]
	s_and_saveexec_b32 s2, vcc_lo
	s_cbranch_execz .LBB0_21
; %bb.20:
	v_add_co_u32 v2, s1, 0x1000, v0
	s_delay_alu instid0(VALU_DEP_1) | instskip(SKIP_1) | instid1(VALU_DEP_1)
	v_add_co_ci_u32_e64 v3, s1, 0, v1, s1
	v_add_co_u32 v4, s1, 0x2000, v0
	v_add_co_ci_u32_e64 v5, s1, 0, v1, s1
	s_clause 0x1
	global_load_b128 v[0:3], v[2:3], off offset:1536
	global_load_b128 v[4:7], v[4:5], off offset:3776
	ds_load_b128 v[8:11], v15 offset:5632
	ds_load_b128 v[124:127], v15 offset:11968
	s_waitcnt vmcnt(1) lgkmcnt(1)
	v_mul_f64 v[12:13], v[10:11], v[2:3]
	v_mul_f64 v[2:3], v[8:9], v[2:3]
	s_waitcnt vmcnt(0) lgkmcnt(0)
	v_mul_f64 v[16:17], v[126:127], v[6:7]
	v_mul_f64 v[18:19], v[124:125], v[6:7]
	s_delay_alu instid0(VALU_DEP_4) | instskip(NEXT) | instid1(VALU_DEP_4)
	v_fma_f64 v[6:7], v[8:9], v[0:1], -v[12:13]
	v_fma_f64 v[8:9], v[10:11], v[0:1], v[2:3]
	s_delay_alu instid0(VALU_DEP_4) | instskip(NEXT) | instid1(VALU_DEP_4)
	v_fma_f64 v[0:1], v[124:125], v[4:5], -v[16:17]
	v_fma_f64 v[2:3], v[126:127], v[4:5], v[18:19]
	ds_store_b128 v15, v[6:9] offset:5632
	ds_store_b128 v15, v[0:3] offset:11968
.LBB0_21:
	s_or_b32 exec_lo, exec_lo, s2
	s_waitcnt lgkmcnt(0)
	s_barrier
	buffer_gl0_inv
	ds_load_b128 v[128:131], v15
	ds_load_b128 v[132:135], v15 offset:1408
	ds_load_b128 v[152:155], v15 offset:6336
	;; [unrolled: 1-line block ×7, first 2 shown]
	s_and_saveexec_b32 s1, vcc_lo
	s_cbranch_execz .LBB0_23
; %bb.22:
	v_lshl_add_u32 v0, v14, 4, v255
	ds_load_b128 v[120:123], v0 offset:5632
	ds_load_b128 v[116:119], v0 offset:11968
.LBB0_23:
	s_or_b32 exec_lo, exec_lo, s1
	s_waitcnt lgkmcnt(5)
	v_add_f64 v[0:1], v[128:129], -v[152:153]
	v_add_f64 v[2:3], v[130:131], -v[154:155]
	v_lshl_add_u32 v12, v14, 5, v255
	s_waitcnt lgkmcnt(0)
	s_barrier
	buffer_gl0_inv
	v_add_f64 v[4:5], v[132:133], -v[148:149]
	v_add_f64 v[6:7], v[134:135], -v[150:151]
	;; [unrolled: 1-line block ×8, first 2 shown]
	v_fma_f64 v[128:129], v[128:129], 2.0, -v[0:1]
	v_fma_f64 v[130:131], v[130:131], 2.0, -v[2:3]
	ds_store_b128 v12, v[128:131]
	ds_store_b128 v12, v[0:3] offset:16
	scratch_load_b32 v0, off, off offset:164 ; 4-byte Folded Reload
	v_fma_f64 v[132:133], v[132:133], 2.0, -v[4:5]
	v_fma_f64 v[134:135], v[134:135], 2.0, -v[6:7]
	;; [unrolled: 1-line block ×8, first 2 shown]
	s_waitcnt vmcnt(0)
	ds_store_b128 v0, v[132:135]
	ds_store_b128 v0, v[4:7] offset:16
	scratch_load_b32 v0, off, off offset:156 ; 4-byte Folded Reload
	s_waitcnt vmcnt(0)
	ds_store_b128 v0, v[136:139]
	ds_store_b128 v0, v[8:11] offset:16
	scratch_load_b32 v0, off, off offset:160 ; 4-byte Folded Reload
	s_waitcnt vmcnt(0)
	ds_store_b128 v0, v[140:143]
	ds_store_b128 v0, v[144:147] offset:16
	s_and_saveexec_b32 s1, vcc_lo
	s_cbranch_execz .LBB0_25
; %bb.24:
	scratch_load_b32 v0, off, off offset:220 ; 4-byte Folded Reload
	s_waitcnt vmcnt(0)
	ds_store_b128 v0, v[116:119]
	ds_store_b128 v0, v[124:127] offset:16
.LBB0_25:
	s_or_b32 exec_lo, exec_lo, s1
	s_waitcnt lgkmcnt(0)
	s_barrier
	buffer_gl0_inv
	ds_load_b128 v[128:131], v15
	ds_load_b128 v[132:135], v15 offset:1408
	ds_load_b128 v[144:147], v15 offset:6336
	;; [unrolled: 1-line block ×7, first 2 shown]
	s_and_saveexec_b32 s1, vcc_lo
	s_cbranch_execz .LBB0_27
; %bb.26:
	ds_load_b128 v[116:119], v15 offset:5632
	ds_load_b128 v[124:127], v15 offset:11968
.LBB0_27:
	s_or_b32 exec_lo, exec_lo, s1
	s_waitcnt lgkmcnt(0)
	v_mul_f64 v[12:13], v[38:39], v[150:151]
	v_mul_f64 v[18:19], v[38:39], v[126:127]
	;; [unrolled: 1-line block ×3, first 2 shown]
	s_barrier
	buffer_gl0_inv
	v_mul_f64 v[0:1], v[38:39], v[146:147]
	v_mul_f64 v[2:3], v[38:39], v[144:145]
	;; [unrolled: 1-line block ×7, first 2 shown]
	v_fma_f64 v[12:13], v[36:37], v[148:149], v[12:13]
	v_fma_f64 v[18:19], v[36:37], v[124:125], v[18:19]
	v_fma_f64 v[22:23], v[36:37], v[126:127], -v[22:23]
	v_fma_f64 v[0:1], v[36:37], v[144:145], v[0:1]
	v_fma_f64 v[2:3], v[36:37], v[146:147], -v[2:3]
	;; [unrolled: 2-line block ×4, first 2 shown]
	v_fma_f64 v[16:17], v[36:37], v[150:151], -v[16:17]
	v_add_f64 v[124:125], v[140:141], -v[12:13]
	scratch_load_b32 v12, off, off offset:184 ; 4-byte Folded Reload
	v_add_f64 v[120:121], v[116:117], -v[18:19]
	v_add_f64 v[122:123], v[118:119], -v[22:23]
	v_add_f64 v[0:1], v[128:129], -v[0:1]
	v_add_f64 v[2:3], v[130:131], -v[2:3]
	v_add_f64 v[4:5], v[132:133], -v[4:5]
	v_add_f64 v[6:7], v[134:135], -v[6:7]
	v_add_f64 v[8:9], v[136:137], -v[8:9]
	v_add_f64 v[10:11], v[138:139], -v[10:11]
	v_add_f64 v[126:127], v[142:143], -v[16:17]
	v_fma_f64 v[140:141], v[140:141], 2.0, -v[124:125]
	v_fma_f64 v[36:37], v[116:117], 2.0, -v[120:121]
	;; [unrolled: 1-line block ×10, first 2 shown]
	s_waitcnt vmcnt(0)
	ds_store_b128 v12, v[128:131]
	ds_store_b128 v12, v[0:3] offset:32
	scratch_load_b32 v0, off, off offset:176 ; 4-byte Folded Reload
	s_waitcnt vmcnt(0)
	ds_store_b128 v0, v[132:135]
	ds_store_b128 v0, v[4:7] offset:32
	scratch_load_b32 v0, off, off offset:172 ; 4-byte Folded Reload
	;; [unrolled: 4-line block ×3, first 2 shown]
	s_waitcnt vmcnt(0)
	ds_store_b128 v0, v[140:143]
	ds_store_b128 v0, v[124:127] offset:32
	s_and_saveexec_b32 s1, vcc_lo
	s_cbranch_execz .LBB0_29
; %bb.28:
	scratch_load_b32 v0, off, off           ; 4-byte Folded Reload
	v_and_b32_e32 v1, 1, v14
	s_waitcnt vmcnt(0)
	s_delay_alu instid0(VALU_DEP_1) | instskip(NEXT) | instid1(VALU_DEP_1)
	v_and_or_b32 v0, 0x3fc, v0, v1
	v_lshl_add_u32 v0, v0, 4, v255
	ds_store_b128 v0, v[36:39]
	ds_store_b128 v0, v[120:123] offset:32
.LBB0_29:
	s_or_b32 exec_lo, exec_lo, s1
	s_waitcnt lgkmcnt(0)
	s_barrier
	buffer_gl0_inv
	ds_load_b128 v[124:127], v15
	ds_load_b128 v[128:131], v15 offset:1408
	ds_load_b128 v[140:143], v15 offset:6336
	;; [unrolled: 1-line block ×7, first 2 shown]
	s_and_saveexec_b32 s1, vcc_lo
	s_cbranch_execz .LBB0_31
; %bb.30:
	ds_load_b128 v[36:39], v15 offset:5632
	ds_load_b128 v[120:123], v15 offset:11968
.LBB0_31:
	s_or_b32 exec_lo, exec_lo, s1
	s_waitcnt lgkmcnt(0)
	v_mul_f64 v[12:13], v[34:35], v[146:147]
	v_mul_f64 v[4:5], v[34:35], v[138:139]
	;; [unrolled: 1-line block ×10, first 2 shown]
	s_barrier
	buffer_gl0_inv
	v_fma_f64 v[12:13], v[32:33], v[144:145], v[12:13]
	v_fma_f64 v[4:5], v[32:33], v[136:137], v[4:5]
	v_fma_f64 v[16:17], v[32:33], v[146:147], -v[16:17]
	v_fma_f64 v[0:1], v[32:33], v[140:141], v[0:1]
	v_fma_f64 v[2:3], v[32:33], v[142:143], -v[2:3]
	v_fma_f64 v[6:7], v[32:33], v[138:139], -v[6:7]
	v_fma_f64 v[8:9], v[32:33], v[148:149], v[8:9]
	v_fma_f64 v[10:11], v[32:33], v[150:151], -v[10:11]
	v_add_f64 v[136:137], v[116:117], -v[12:13]
	v_fma_f64 v[12:13], v[32:33], v[120:121], v[18:19]
	v_add_f64 v[138:139], v[118:119], -v[16:17]
	v_fma_f64 v[16:17], v[32:33], v[122:123], -v[22:23]
	v_add_f64 v[0:1], v[124:125], -v[0:1]
	v_add_f64 v[2:3], v[126:127], -v[2:3]
	;; [unrolled: 1-line block ×6, first 2 shown]
	v_fma_f64 v[116:117], v[116:117], 2.0, -v[136:137]
	v_add_f64 v[32:33], v[36:37], -v[12:13]
	scratch_load_b32 v12, off, off offset:196 ; 4-byte Folded Reload
	v_fma_f64 v[118:119], v[118:119], 2.0, -v[138:139]
	v_fma_f64 v[120:121], v[124:125], 2.0, -v[0:1]
	;; [unrolled: 1-line block ×7, first 2 shown]
	v_add_f64 v[34:35], v[38:39], -v[16:17]
	s_waitcnt vmcnt(0)
	ds_store_b128 v12, v[120:123]
	ds_store_b128 v12, v[0:3] offset:64
	scratch_load_b32 v0, off, off offset:192 ; 4-byte Folded Reload
	s_waitcnt vmcnt(0)
	ds_store_b128 v0, v[124:127]
	ds_store_b128 v0, v[4:7] offset:64
	scratch_load_b32 v0, off, off offset:188 ; 4-byte Folded Reload
	;; [unrolled: 4-line block ×3, first 2 shown]
	s_waitcnt vmcnt(0)
	ds_store_b128 v0, v[116:119]
	ds_store_b128 v0, v[136:139] offset:64
	s_and_saveexec_b32 s1, vcc_lo
	s_cbranch_execz .LBB0_33
; %bb.32:
	scratch_load_b32 v4, off, off           ; 4-byte Folded Reload
	v_fma_f64 v[2:3], v[38:39], 2.0, -v[34:35]
	v_fma_f64 v[0:1], v[36:37], 2.0, -v[32:33]
	v_and_b32_e32 v5, 3, v14
	s_waitcnt vmcnt(0)
	s_delay_alu instid0(VALU_DEP_1) | instskip(NEXT) | instid1(VALU_DEP_1)
	v_and_or_b32 v4, 0x3f8, v4, v5
	v_lshl_add_u32 v4, v4, 4, v255
	ds_store_b128 v4, v[0:3]
	ds_store_b128 v4, v[32:35] offset:64
.LBB0_33:
	s_or_b32 exec_lo, exec_lo, s1
	s_waitcnt lgkmcnt(0)
	s_barrier
	buffer_gl0_inv
	ds_load_b128 v[0:3], v15 offset:4224
	ds_load_b128 v[4:7], v15 offset:8448
	;; [unrolled: 1-line block ×7, first 2 shown]
	s_mov_b32 s2, 0xe8584caa
	s_mov_b32 s3, 0xbfebb67a
	;; [unrolled: 1-line block ×4, first 2 shown]
	s_waitcnt lgkmcnt(6)
	v_mul_f64 v[18:19], v[62:63], v[0:1]
	s_waitcnt lgkmcnt(5)
	v_mul_f64 v[22:23], v[58:59], v[4:5]
	v_mul_f64 v[12:13], v[62:63], v[2:3]
	v_mul_f64 v[16:17], v[58:59], v[6:7]
	s_waitcnt lgkmcnt(4)
	v_mul_f64 v[24:25], v[62:63], v[10:11]
	s_waitcnt lgkmcnt(3)
	v_mul_f64 v[26:27], v[58:59], v[38:39]
	v_mul_f64 v[28:29], v[62:63], v[8:9]
	v_mul_f64 v[30:31], v[58:59], v[36:37]
	;; [unrolled: 6-line block ×3, first 2 shown]
	v_fma_f64 v[18:19], v[60:61], v[2:3], -v[18:19]
	v_fma_f64 v[22:23], v[56:57], v[6:7], -v[22:23]
	v_fma_f64 v[12:13], v[60:61], v[0:1], v[12:13]
	v_fma_f64 v[16:17], v[56:57], v[4:5], v[16:17]
	;; [unrolled: 1-line block ×4, first 2 shown]
	ds_load_b128 v[0:3], v15
	ds_load_b128 v[4:7], v15 offset:1408
	v_fma_f64 v[26:27], v[56:57], v[38:39], -v[30:31]
	v_fma_f64 v[10:11], v[60:61], v[10:11], -v[28:29]
	v_fma_f64 v[30:31], v[56:57], v[120:121], v[130:131]
	v_fma_f64 v[36:37], v[60:61], v[118:119], -v[62:63]
	v_fma_f64 v[38:39], v[56:57], v[122:123], -v[58:59]
	s_waitcnt lgkmcnt(0)
	s_barrier
	buffer_gl0_inv
	v_fma_f64 v[28:29], v[60:61], v[116:117], v[128:129]
	v_add_f64 v[58:59], v[18:19], v[22:23]
	v_add_f64 v[120:121], v[0:1], v[12:13]
	;; [unrolled: 1-line block ×3, first 2 shown]
	v_add_f64 v[12:13], v[12:13], -v[16:17]
	v_add_f64 v[60:61], v[8:9], v[24:25]
	v_add_f64 v[122:123], v[18:19], -v[22:23]
	v_add_f64 v[18:19], v[2:3], v[18:19]
	v_add_f64 v[62:63], v[10:11], v[26:27]
	;; [unrolled: 1-line block ×5, first 2 shown]
	v_add_f64 v[136:137], v[10:11], -v[26:27]
	v_add_f64 v[144:145], v[36:37], -v[38:39]
	v_add_f64 v[128:129], v[4:5], v[8:9]
	v_add_f64 v[140:141], v[8:9], -v[24:25]
	v_add_f64 v[116:117], v[28:29], v[30:31]
	v_add_f64 v[132:133], v[124:125], v[28:29]
	v_add_f64 v[28:29], v[28:29], -v[30:31]
	v_fma_f64 v[58:59], v[58:59], -0.5, v[2:3]
	v_fma_f64 v[56:57], v[56:57], -0.5, v[0:1]
	v_add_f64 v[0:1], v[120:121], v[16:17]
	v_fma_f64 v[138:139], v[60:61], -0.5, v[4:5]
	v_add_f64 v[2:3], v[18:19], v[22:23]
	;; [unrolled: 2-line block ×3, first 2 shown]
	v_add_f64 v[10:11], v[134:135], v[38:39]
	v_fma_f64 v[126:127], v[118:119], -0.5, v[126:127]
	v_add_f64 v[4:5], v[128:129], v[24:25]
	v_fma_f64 v[124:125], v[116:117], -0.5, v[124:125]
	v_add_f64 v[8:9], v[132:133], v[30:31]
	v_fma_f64 v[38:39], v[12:13], s[10:11], v[58:59]
	v_fma_f64 v[58:59], v[12:13], s[2:3], v[58:59]
	scratch_load_b32 v12, off, off offset:216 ; 4-byte Folded Reload
	v_fma_f64 v[36:37], v[122:123], s[2:3], v[56:57]
	v_fma_f64 v[56:57], v[122:123], s[10:11], v[56:57]
	;; [unrolled: 1-line block ×6, first 2 shown]
	s_waitcnt vmcnt(0)
	ds_store_b128 v12, v[0:3]
	ds_store_b128 v12, v[36:39] offset:128
	ds_store_b128 v12, v[56:59] offset:256
	ds_store_b128 v21, v[4:7]
	ds_store_b128 v21, v[60:63] offset:128
	ds_store_b128 v21, v[116:119] offset:256
	scratch_load_b32 v0, off, off offset:208 ; 4-byte Folded Reload
	v_fma_f64 v[120:121], v[144:145], s[2:3], v[124:125]
	v_fma_f64 v[122:123], v[28:29], s[10:11], v[126:127]
	;; [unrolled: 1-line block ×4, first 2 shown]
	s_waitcnt vmcnt(0)
	ds_store_b128 v0, v[8:11]
	ds_store_b128 v0, v[120:123] offset:128
	ds_store_b128 v0, v[124:127] offset:256
	s_waitcnt lgkmcnt(0)
	s_barrier
	buffer_gl0_inv
	ds_load_b128 v[0:3], v15 offset:4224
	ds_load_b128 v[4:7], v15 offset:8448
	;; [unrolled: 1-line block ×7, first 2 shown]
	s_waitcnt lgkmcnt(6)
	v_mul_f64 v[12:13], v[86:87], v[2:3]
	s_waitcnt lgkmcnt(5)
	v_mul_f64 v[16:17], v[74:75], v[6:7]
	v_mul_f64 v[18:19], v[86:87], v[0:1]
	v_mul_f64 v[20:21], v[74:75], v[4:5]
	s_waitcnt lgkmcnt(4)
	v_mul_f64 v[22:23], v[82:83], v[10:11]
	s_waitcnt lgkmcnt(3)
	v_mul_f64 v[24:25], v[78:79], v[38:39]
	v_mul_f64 v[26:27], v[82:83], v[8:9]
	v_mul_f64 v[28:29], v[78:79], v[36:37]
	;; [unrolled: 6-line block ×3, first 2 shown]
	v_fma_f64 v[12:13], v[84:85], v[0:1], v[12:13]
	v_fma_f64 v[16:17], v[72:73], v[4:5], v[16:17]
	v_fma_f64 v[18:19], v[84:85], v[2:3], -v[18:19]
	v_fma_f64 v[20:21], v[72:73], v[6:7], -v[20:21]
	v_fma_f64 v[8:9], v[80:81], v[8:9], v[22:23]
	v_fma_f64 v[22:23], v[76:77], v[36:37], v[24:25]
	v_fma_f64 v[10:11], v[80:81], v[10:11], -v[26:27]
	v_fma_f64 v[24:25], v[76:77], v[38:39], -v[28:29]
	ds_load_b128 v[0:3], v15
	ds_load_b128 v[4:7], v15 offset:1408
	v_fma_f64 v[26:27], v[92:93], v[56:57], v[30:31]
	v_fma_f64 v[28:29], v[88:89], v[60:61], v[74:75]
	v_fma_f64 v[30:31], v[92:93], v[58:59], -v[78:79]
	s_waitcnt lgkmcnt(0)
	s_barrier
	buffer_gl0_inv
	v_fma_f64 v[60:61], v[88:89], v[62:63], -v[82:83]
	v_add_f64 v[74:75], v[0:1], v[12:13]
	v_add_f64 v[36:37], v[12:13], v[16:17]
	v_add_f64 v[12:13], v[12:13], -v[16:17]
	v_add_f64 v[76:77], v[18:19], -v[20:21]
	v_add_f64 v[38:39], v[18:19], v[20:21]
	v_add_f64 v[18:19], v[2:3], v[18:19]
	v_add_f64 v[80:81], v[6:7], v[10:11]
	v_add_f64 v[58:59], v[10:11], v[24:25]
	v_add_f64 v[56:57], v[8:9], v[22:23]
	v_add_f64 v[82:83], v[116:117], v[26:27]
	v_add_f64 v[78:79], v[4:5], v[8:9]
	v_add_f64 v[84:85], v[118:119], v[30:31]
	v_add_f64 v[10:11], v[10:11], -v[24:25]
	v_add_f64 v[8:9], v[8:9], -v[22:23]
	v_add_f64 v[62:63], v[26:27], v[28:29]
	v_add_f64 v[72:73], v[30:31], v[60:61]
	v_add_f64 v[30:31], v[30:31], -v[60:61]
	v_add_f64 v[26:27], v[26:27], -v[28:29]
	v_fma_f64 v[0:1], v[36:37], -0.5, v[0:1]
	v_add_f64 v[36:37], v[74:75], v[16:17]
	v_fma_f64 v[2:3], v[38:39], -0.5, v[2:3]
	v_add_f64 v[38:39], v[18:19], v[20:21]
	;; [unrolled: 2-line block ×3, first 2 shown]
	v_add_f64 v[92:93], v[82:83], v[28:29]
	v_fma_f64 v[4:5], v[56:57], -0.5, v[4:5]
	v_add_f64 v[56:57], v[78:79], v[22:23]
	v_add_f64 v[94:95], v[84:85], v[60:61]
	v_fma_f64 v[62:63], v[62:63], -0.5, v[116:117]
	v_fma_f64 v[116:117], v[72:73], -0.5, v[118:119]
	v_fma_f64 v[80:81], v[76:77], s[2:3], v[0:1]
	v_fma_f64 v[76:77], v[76:77], s[10:11], v[0:1]
	scratch_load_b32 v0, off, off offset:212 ; 4-byte Folded Reload
	v_fma_f64 v[82:83], v[12:13], s[10:11], v[2:3]
	v_fma_f64 v[78:79], v[12:13], s[2:3], v[2:3]
	s_waitcnt vmcnt(0)
	ds_store_b128 v0, v[36:39]
	ds_store_b128 v0, v[80:83] offset:384
	ds_store_b128 v0, v[76:79] offset:768
	scratch_load_b32 v0, off, off offset:204 ; 4-byte Folded Reload
	v_fma_f64 v[84:85], v[10:11], s[2:3], v[4:5]
	v_fma_f64 v[86:87], v[8:9], s[10:11], v[6:7]
	v_fma_f64 v[88:89], v[10:11], s[10:11], v[4:5]
	v_fma_f64 v[90:91], v[8:9], s[2:3], v[6:7]
	v_fma_f64 v[60:61], v[30:31], s[2:3], v[62:63]
	v_fma_f64 v[72:73], v[30:31], s[10:11], v[62:63]
	v_fma_f64 v[62:63], v[26:27], s[10:11], v[116:117]
	v_fma_f64 v[74:75], v[26:27], s[2:3], v[116:117]
	s_waitcnt vmcnt(0)
	ds_store_b128 v0, v[56:59]
	ds_store_b128 v0, v[84:87] offset:384
	ds_store_b128 v0, v[88:91] offset:768
	scratch_load_b32 v0, off, off offset:200 ; 4-byte Folded Reload
	s_waitcnt vmcnt(0)
	ds_store_b128 v0, v[92:95]
	ds_store_b128 v0, v[60:63] offset:384
	ds_store_b128 v0, v[72:75] offset:768
	s_waitcnt lgkmcnt(0)
	s_barrier
	buffer_gl0_inv
	s_and_saveexec_b32 s1, s0
	s_cbranch_execz .LBB0_35
; %bb.34:
	ds_load_b128 v[36:39], v15
	ds_load_b128 v[80:83], v15 offset:1152
	ds_load_b128 v[76:79], v15 offset:2304
	;; [unrolled: 1-line block ×10, first 2 shown]
.LBB0_35:
	s_or_b32 exec_lo, exec_lo, s1
	s_and_saveexec_b32 s16, s0
	s_cbranch_execz .LBB0_37
; %bb.36:
	s_waitcnt lgkmcnt(9)
	v_mul_f64 v[0:1], v[70:71], v[80:81]
	v_mul_f64 v[2:3], v[70:71], v[82:83]
	s_waitcnt lgkmcnt(3)
	v_mul_f64 v[16:17], v[66:67], v[62:63]
	v_mul_f64 v[18:19], v[102:103], v[84:85]
	;; [unrolled: 1-line block ×3, first 2 shown]
	s_waitcnt lgkmcnt(2)
	v_mul_f64 v[22:23], v[54:55], v[74:75]
	v_mul_f64 v[24:25], v[98:99], v[78:79]
	s_waitcnt lgkmcnt(1)
	v_mul_f64 v[26:27], v[46:47], v[34:35]
	v_mul_f64 v[28:29], v[98:99], v[76:77]
	;; [unrolled: 1-line block ×7, first 2 shown]
	s_waitcnt lgkmcnt(0)
	v_mul_f64 v[30:31], v[42:43], v[110:111]
	v_mul_f64 v[66:67], v[66:67], v[60:61]
	;; [unrolled: 1-line block ×4, first 2 shown]
	s_mov_b32 s22, 0xbb3a28a1
	s_mov_b32 s24, 0xf8bb580b
	;; [unrolled: 1-line block ×20, first 2 shown]
	v_fma_f64 v[0:1], v[68:69], v[82:83], -v[0:1]
	v_fma_f64 v[2:3], v[68:69], v[80:81], v[2:3]
	v_mul_f64 v[68:69], v[50:51], v[56:57]
	v_mul_f64 v[80:81], v[42:43], v[108:109]
	v_fma_f64 v[50:51], v[64:65], v[60:61], v[16:17]
	v_fma_f64 v[16:17], v[100:101], v[86:87], -v[18:19]
	v_fma_f64 v[18:19], v[48:49], v[56:57], v[20:21]
	v_fma_f64 v[46:47], v[52:53], v[72:73], v[22:23]
	;; [unrolled: 1-line block ×4, first 2 shown]
	v_fma_f64 v[22:23], v[96:97], v[78:79], -v[28:29]
	v_fma_f64 v[4:5], v[104:105], v[88:89], v[4:5]
	v_fma_f64 v[6:7], v[112:113], v[92:93], v[6:7]
	v_fma_f64 v[8:9], v[104:105], v[90:91], -v[8:9]
	v_fma_f64 v[10:11], v[112:113], v[94:95], -v[10:11]
	v_fma_f64 v[12:13], v[100:101], v[84:85], v[12:13]
	v_fma_f64 v[32:33], v[40:41], v[108:109], v[30:31]
	v_fma_f64 v[28:29], v[64:65], v[62:63], -v[66:67]
	v_fma_f64 v[34:35], v[44:45], v[34:35], -v[70:71]
	s_mov_b32 s30, s18
	s_mov_b32 s34, s26
	;; [unrolled: 1-line block ×4, first 2 shown]
	v_add_f64 v[24:25], v[38:39], v[0:1]
	v_add_f64 v[26:27], v[36:37], v[2:3]
	v_fma_f64 v[30:31], v[48:49], v[58:59], -v[68:69]
	v_fma_f64 v[48:49], v[52:53], v[74:75], -v[54:55]
	;; [unrolled: 1-line block ×3, first 2 shown]
	v_add_f64 v[54:55], v[18:19], -v[46:47]
	v_add_f64 v[80:81], v[18:19], v[46:47]
	v_add_f64 v[56:57], v[20:21], -v[42:43]
	v_add_f64 v[44:45], v[4:5], -v[6:7]
	v_add_f64 v[76:77], v[4:5], v[6:7]
	v_add_f64 v[60:61], v[8:9], -v[10:11]
	v_add_f64 v[52:53], v[12:13], -v[50:51]
	;; [unrolled: 1-line block ×5, first 2 shown]
	v_add_f64 v[72:73], v[16:17], v[28:29]
	v_add_f64 v[78:79], v[12:13], v[50:51]
	;; [unrolled: 1-line block ×7, first 2 shown]
	v_add_f64 v[64:65], v[30:31], -v[48:49]
	v_add_f64 v[68:69], v[0:1], -v[40:41]
	v_add_f64 v[74:75], v[30:31], v[48:49]
	v_add_f64 v[0:1], v[0:1], v[40:41]
	v_mul_f64 v[122:123], v[54:55], s[20:21]
	v_add_f64 v[20:21], v[20:21], v[42:43]
	v_mul_f64 v[88:89], v[56:57], s[24:25]
	v_mul_f64 v[104:105], v[56:57], s[30:31]
	;; [unrolled: 1-line block ×29, first 2 shown]
	v_add_f64 v[24:25], v[24:25], v[30:31]
	v_add_f64 v[18:19], v[26:27], v[18:19]
	v_mul_f64 v[30:31], v[62:63], s[20:21]
	v_mul_f64 v[132:133], v[64:65], s[20:21]
	;; [unrolled: 1-line block ×4, first 2 shown]
	s_mov_b32 s21, 0xbfed1bb4
	v_mul_f64 v[156:157], v[68:69], s[28:29]
	v_mul_f64 v[136:137], v[68:69], s[18:19]
	;; [unrolled: 1-line block ×7, first 2 shown]
	v_fma_f64 v[160:161], v[22:23], s[10:11], v[88:89]
	v_fma_f64 v[88:89], v[22:23], s[10:11], -v[88:89]
	v_fma_f64 v[162:163], v[0:1], s[2:3], v[90:91]
	v_fma_f64 v[174:175], v[0:1], s[12:13], v[106:107]
	v_fma_f64 v[178:179], v[0:1], s[14:15], -v[126:127]
	v_fma_f64 v[180:181], v[0:1], s[10:11], -v[154:155]
	;; [unrolled: 1-line block ×4, first 2 shown]
	v_fma_f64 v[126:127], v[0:1], s[14:15], v[126:127]
	v_fma_f64 v[154:155], v[0:1], s[10:11], v[154:155]
	v_fma_f64 v[170:171], v[20:21], s[10:11], -v[94:95]
	v_fma_f64 v[94:95], v[20:21], s[10:11], v[94:95]
	v_fma_f64 v[186:187], v[22:23], s[2:3], v[124:125]
	v_fma_f64 v[188:189], v[20:21], s[2:3], -v[134:135]
	v_fma_f64 v[124:125], v[22:23], s[2:3], -v[124:125]
	v_fma_f64 v[134:135], v[20:21], s[2:3], v[134:135]
	v_fma_f64 v[190:191], v[22:23], s[12:13], v[144:145]
	v_fma_f64 v[192:193], v[20:21], s[12:13], -v[152:153]
	;; [unrolled: 4-line block ×3, first 2 shown]
	v_fma_f64 v[158:159], v[74:75], s[12:13], v[86:87]
	v_fma_f64 v[86:87], v[74:75], s[12:13], -v[86:87]
	v_add_f64 v[16:17], v[24:25], v[16:17]
	v_add_f64 v[12:13], v[18:19], v[12:13]
	v_mul_f64 v[18:19], v[58:59], s[20:21]
	v_mul_f64 v[24:25], v[68:69], s[20:21]
	;; [unrolled: 1-line block ×6, first 2 shown]
	v_fma_f64 v[172:173], v[2:3], s[2:3], -v[96:97]
	v_fma_f64 v[176:177], v[2:3], s[12:13], -v[116:117]
	v_fma_f64 v[182:183], v[2:3], s[10:11], v[156:157]
	v_fma_f64 v[96:97], v[2:3], s[2:3], v[96:97]
	;; [unrolled: 1-line block ×4, first 2 shown]
	v_fma_f64 v[136:137], v[2:3], s[14:15], -v[136:137]
	v_fma_f64 v[194:195], v[22:23], s[0:1], v[56:57]
	v_fma_f64 v[168:169], v[80:81], s[12:13], -v[92:93]
	v_fma_f64 v[92:93], v[80:81], s[12:13], v[92:93]
	v_mul_f64 v[118:119], v[44:45], s[22:23]
	v_mul_f64 v[138:139], v[44:45], s[24:25]
	v_add_f64 v[90:91], v[38:39], v[90:91]
	v_add_f64 v[106:107], v[38:39], v[106:107]
	v_mul_f64 v[44:45], v[44:45], s[26:27]
	v_fma_f64 v[68:69], v[72:73], s[0:1], v[84:85]
	v_fma_f64 v[166:167], v[78:79], s[0:1], -v[30:31]
	v_fma_f64 v[84:85], v[72:73], s[0:1], -v[84:85]
	v_fma_f64 v[30:31], v[78:79], s[0:1], v[30:31]
	v_fma_f64 v[66:67], v[70:71], s[14:15], v[82:83]
	v_fma_f64 v[82:83], v[70:71], s[14:15], -v[82:83]
	v_fma_f64 v[164:165], v[76:77], s[14:15], -v[26:27]
	v_fma_f64 v[26:27], v[76:77], s[14:15], v[26:27]
	v_add_f64 v[8:9], v[16:17], v[8:9]
	v_add_f64 v[4:5], v[12:13], v[4:5]
	v_fma_f64 v[12:13], v[0:1], s[0:1], -v[18:19]
	v_fma_f64 v[16:17], v[2:3], s[0:1], v[24:25]
	v_fma_f64 v[0:1], v[0:1], s[0:1], v[18:19]
	v_fma_f64 v[18:19], v[2:3], s[0:1], -v[24:25]
	v_fma_f64 v[2:3], v[2:3], s[10:11], -v[156:157]
	v_fma_f64 v[24:25], v[22:23], s[14:15], v[104:105]
	v_fma_f64 v[156:157], v[20:21], s[14:15], -v[114:115]
	v_fma_f64 v[104:105], v[22:23], s[14:15], -v[104:105]
	;; [unrolled: 3-line block ×3, first 2 shown]
	v_fma_f64 v[20:21], v[20:21], s[0:1], v[64:65]
	v_add_f64 v[56:57], v[38:39], v[162:163]
	v_add_f64 v[64:65], v[36:37], v[172:173]
	;; [unrolled: 1-line block ×8, first 2 shown]
	v_fma_f64 v[200:201], v[80:81], s[14:15], -v[62:63]
	v_fma_f64 v[62:63], v[80:81], s[14:15], v[62:63]
	v_fma_f64 v[182:183], v[74:75], s[2:3], v[142:143]
	v_fma_f64 v[142:143], v[74:75], s[2:3], -v[142:143]
	v_fma_f64 v[180:181], v[80:81], s[0:1], -v[132:133]
	v_fma_f64 v[132:133], v[80:81], s[0:1], v[132:133]
	v_add_f64 v[8:9], v[8:9], v[10:11]
	v_add_f64 v[4:5], v[4:5], v[6:7]
	;; [unrolled: 1-line block ×12, first 2 shown]
	v_fma_f64 v[36:37], v[74:75], s[10:11], v[102:103]
	v_fma_f64 v[38:39], v[80:81], s[10:11], -v[112:113]
	v_fma_f64 v[102:103], v[74:75], s[10:11], -v[102:103]
	v_fma_f64 v[154:155], v[74:75], s[0:1], v[122:123]
	v_fma_f64 v[122:123], v[74:75], s[0:1], -v[122:123]
	v_add_f64 v[74:75], v[88:89], v[90:91]
	v_add_f64 v[24:25], v[24:25], v[162:163]
	;; [unrolled: 1-line block ×6, first 2 shown]
	v_fma_f64 v[112:113], v[80:81], s[10:11], v[112:113]
	v_fma_f64 v[184:185], v[80:81], s[2:3], -v[150:151]
	v_fma_f64 v[150:151], v[80:81], s[2:3], v[150:151]
	v_add_f64 v[56:57], v[160:161], v[56:57]
	v_add_f64 v[80:81], v[94:95], v[96:97]
	;; [unrolled: 1-line block ×4, first 2 shown]
	v_fma_f64 v[104:105], v[72:73], s[2:3], v[100:101]
	v_fma_f64 v[106:107], v[78:79], s[2:3], -v[110:111]
	v_fma_f64 v[100:101], v[72:73], s[2:3], -v[100:101]
	v_fma_f64 v[110:111], v[78:79], s[2:3], v[110:111]
	v_fma_f64 v[124:125], v[78:79], s[10:11], v[130:131]
	v_add_f64 v[8:9], v[8:9], v[28:29]
	v_add_f64 v[4:5], v[4:5], v[50:51]
	;; [unrolled: 1-line block ×12, first 2 shown]
	v_fma_f64 v[126:127], v[72:73], s[14:15], v[140:141]
	v_fma_f64 v[134:135], v[72:73], s[14:15], -v[140:141]
	v_fma_f64 v[140:141], v[72:73], s[12:13], v[52:53]
	v_fma_f64 v[144:145], v[78:79], s[12:13], -v[60:61]
	v_fma_f64 v[52:53], v[72:73], s[12:13], -v[52:53]
	v_fma_f64 v[60:61], v[78:79], s[12:13], v[60:61]
	v_add_f64 v[24:25], v[36:37], v[24:25]
	v_add_f64 v[22:23], v[54:55], v[22:23]
	;; [unrolled: 1-line block ×5, first 2 shown]
	v_fma_f64 v[114:115], v[72:73], s[10:11], v[120:121]
	v_fma_f64 v[120:121], v[72:73], s[10:11], -v[120:121]
	v_fma_f64 v[136:137], v[78:79], s[14:15], v[148:149]
	v_add_f64 v[56:57], v[158:159], v[56:57]
	v_add_f64 v[72:73], v[86:87], v[74:75]
	;; [unrolled: 1-line block ×3, first 2 shown]
	v_fma_f64 v[116:117], v[78:79], s[10:11], -v[130:131]
	v_fma_f64 v[130:131], v[78:79], s[14:15], -v[148:149]
	v_add_f64 v[78:79], v[122:123], v[94:95]
	v_add_f64 v[64:65], v[168:169], v[64:65]
	v_fma_f64 v[54:55], v[76:77], s[0:1], -v[108:109]
	v_fma_f64 v[62:63], v[70:71], s[0:1], -v[98:99]
	v_fma_f64 v[80:81], v[76:77], s[0:1], v[108:109]
	v_fma_f64 v[108:109], v[70:71], s[2:3], v[44:45]
	v_fma_f64 v[44:45], v[70:71], s[2:3], -v[44:45]
	v_add_f64 v[8:9], v[8:9], v[48:49]
	v_add_f64 v[4:5], v[4:5], v[46:47]
	v_add_f64 v[6:7], v[142:143], v[6:7]
	v_add_f64 v[10:11], v[150:151], v[10:11]
	v_add_f64 v[12:13], v[132:133], v[12:13]
	v_add_f64 v[16:17], v[112:113], v[16:17]
	v_add_f64 v[28:29], v[154:155], v[28:29]
	v_add_f64 v[46:47], v[180:181], v[50:51]
	v_add_f64 v[0:1], v[182:183], v[0:1]
	v_add_f64 v[18:19], v[184:185], v[18:19]
	v_add_f64 v[48:49], v[198:199], v[96:97]
	v_add_f64 v[2:3], v[200:201], v[2:3]
	v_fma_f64 v[112:113], v[76:77], s[2:3], -v[58:59]
	v_fma_f64 v[58:59], v[76:77], s[2:3], v[58:59]
	v_fma_f64 v[50:51], v[70:71], s[0:1], v[98:99]
	v_fma_f64 v[98:99], v[70:71], s[10:11], -v[138:139]
	v_fma_f64 v[102:103], v[76:77], s[10:11], v[146:147]
	v_fma_f64 v[86:87], v[70:71], s[12:13], v[118:119]
	v_fma_f64 v[90:91], v[70:71], s[12:13], -v[118:119]
	v_add_f64 v[22:23], v[52:53], v[22:23]
	v_add_f64 v[20:21], v[60:61], v[20:21]
	;; [unrolled: 1-line block ×4, first 2 shown]
	v_fma_f64 v[92:93], v[76:77], s[12:13], v[128:129]
	v_fma_f64 v[94:95], v[70:71], s[10:11], v[138:139]
	v_add_f64 v[24:25], v[104:105], v[24:25]
	v_add_f64 v[56:57], v[68:69], v[56:57]
	;; [unrolled: 1-line block ×4, first 2 shown]
	v_fma_f64 v[88:89], v[76:77], s[12:13], -v[128:129]
	v_fma_f64 v[96:97], v[76:77], s[10:11], -v[146:147]
	v_add_f64 v[70:71], v[120:121], v[78:79]
	v_add_f64 v[64:65], v[166:167], v[64:65]
	;; [unrolled: 1-line block ×36, first 2 shown]
	v_lshl_add_u32 v12, v14, 4, v255
	ds_store_b128 v15, v[40:43]
	ds_store_b128 v12, v[36:39] offset:1152
	ds_store_b128 v12, v[44:47] offset:2304
	ds_store_b128 v12, v[32:35] offset:3456
	ds_store_b128 v12, v[16:19] offset:4608
	ds_store_b128 v12, v[4:7] offset:5760
	ds_store_b128 v12, v[0:3] offset:6912
	ds_store_b128 v12, v[8:11] offset:8064
	ds_store_b128 v12, v[48:51] offset:9216
	ds_store_b128 v12, v[56:59] offset:10368
	ds_store_b128 v12, v[52:55] offset:11520
.LBB0_37:
	s_or_b32 exec_lo, exec_lo, s16
	s_waitcnt lgkmcnt(0)
	s_barrier
	buffer_gl0_inv
	ds_load_b128 v[0:3], v15
	ds_load_b128 v[4:7], v15 offset:6336
	ds_load_b128 v[8:11], v15 offset:1408
	;; [unrolled: 1-line block ×7, first 2 shown]
	s_clause 0x2
	scratch_load_b128 v[73:76], off, off offset:12
	scratch_load_b64 v[66:67], off, off offset:4
	scratch_load_b128 v[87:90], off, off offset:108
	v_mad_u64_u32 v[68:69], null, s4, v14, 0
	s_mul_i32 s0, s5, 0x18c
	s_mul_hi_u32 s1, s4, 0x18c
	s_mov_b32 s2, 0xa052bf5b
	s_mul_i32 s11, s5, 0xfffffecc
	s_mov_b32 s3, 0x3f54afd6
	s_mul_i32 s10, s4, 0xfffffecc
	scratch_load_b128 v[83:86], off, off offset:92 ; 16-byte Folded Reload
	s_waitcnt vmcnt(3) lgkmcnt(7)
	v_mul_f64 v[12:13], v[75:76], v[2:3]
	v_mul_f64 v[20:21], v[75:76], v[0:1]
	scratch_load_b128 v[75:78], off, off offset:44 ; 16-byte Folded Reload
	s_waitcnt vmcnt(3)
	v_mov_b32_e32 v72, v66
	s_delay_alu instid0(VALU_DEP_1) | instskip(SKIP_4) | instid1(VALU_DEP_3)
	v_mad_u64_u32 v[66:67], null, s6, v72, 0
	s_mul_i32 s6, s4, 0x18c
	s_waitcnt vmcnt(1) lgkmcnt(4)
	v_mul_f64 v[30:31], v[85:86], v[18:19]
	v_mul_f64 v[48:49], v[85:86], v[16:17]
	v_mad_u64_u32 v[70:71], null, s7, v72, v[67:68]
	v_mov_b32_e32 v67, v69
	s_add_i32 s7, s1, s0
	s_delay_alu instid0(VALU_DEP_1) | instskip(NEXT) | instid1(VALU_DEP_3)
	v_mad_u64_u32 v[71:72], null, s5, v14, v[67:68]
	v_mov_b32_e32 v67, v70
	s_mul_hi_u32 s5, s4, 0xfffffecc
	s_delay_alu instid0(SALU_CYCLE_1) | instskip(SKIP_2) | instid1(VALU_DEP_2)
	s_sub_i32 s1, s5, s4
	s_lshl_b64 s[4:5], s[6:7], 4
	s_add_i32 s11, s1, s11
	v_mov_b32_e32 v69, v71
	s_lshl_b64 s[6:7], s[10:11], 4
	v_fma_f64 v[0:1], v[73:74], v[0:1], v[12:13]
	v_fma_f64 v[12:13], v[73:74], v[2:3], -v[20:21]
	v_lshlrev_b64 v[2:3], 4, v[66:67]
	s_delay_alu instid0(VALU_DEP_1) | instskip(NEXT) | instid1(VALU_DEP_1)
	v_add_co_u32 v2, s0, s8, v2
	v_add_co_ci_u32_e64 v3, s0, s9, v3, s0
	v_fma_f64 v[16:17], v[83:84], v[16:17], v[30:31]
	v_fma_f64 v[18:19], v[83:84], v[18:19], -v[48:49]
	s_delay_alu instid0(VALU_DEP_2) | instskip(NEXT) | instid1(VALU_DEP_2)
	v_mul_f64 v[16:17], v[16:17], s[2:3]
	v_mul_f64 v[18:19], v[18:19], s[2:3]
	s_waitcnt vmcnt(0)
	v_mul_f64 v[26:27], v[77:78], v[10:11]
	v_mul_f64 v[28:29], v[77:78], v[8:9]
	scratch_load_b128 v[77:80], off, off offset:60 ; 16-byte Folded Reload
	v_mul_f64 v[22:23], v[89:90], v[6:7]
	v_mul_f64 v[24:25], v[89:90], v[4:5]
	scratch_load_b128 v[89:92], off, off offset:124 ; 16-byte Folded Reload
	v_fma_f64 v[20:21], v[87:88], v[4:5], v[22:23]
	v_fma_f64 v[22:23], v[87:88], v[6:7], -v[24:25]
	v_fma_f64 v[24:25], v[75:76], v[8:9], v[26:27]
	v_fma_f64 v[26:27], v[75:76], v[10:11], -v[28:29]
	v_lshlrev_b64 v[4:5], 4, v[68:69]
	v_mul_f64 v[6:7], v[20:21], s[2:3]
	v_mul_f64 v[8:9], v[22:23], s[2:3]
	;; [unrolled: 1-line block ×3, first 2 shown]
	s_waitcnt vmcnt(1) lgkmcnt(3)
	v_mul_f64 v[50:51], v[79:80], v[34:35]
	v_mul_f64 v[52:53], v[79:80], v[32:33]
	scratch_load_b128 v[79:82], off, off offset:76 ; 16-byte Folded Reload
	s_waitcnt vmcnt(1) lgkmcnt(1)
	v_mul_f64 v[58:59], v[91:92], v[42:43]
	v_mul_f64 v[60:61], v[91:92], v[40:41]
	scratch_load_b128 v[91:94], off, off offset:140 ; 16-byte Folded Reload
	v_fma_f64 v[28:29], v[77:78], v[32:33], v[50:51]
	v_fma_f64 v[30:31], v[77:78], v[34:35], -v[52:53]
	s_delay_alu instid0(VALU_DEP_2) | instskip(NEXT) | instid1(VALU_DEP_2)
	v_mul_f64 v[20:21], v[28:29], s[2:3]
	v_mul_f64 v[22:23], v[30:31], s[2:3]
	s_waitcnt vmcnt(1)
	v_mul_f64 v[54:55], v[81:82], v[38:39]
	v_mul_f64 v[56:57], v[81:82], v[36:37]
	s_waitcnt vmcnt(0) lgkmcnt(0)
	v_mul_f64 v[62:63], v[93:94], v[46:47]
	v_mul_f64 v[64:65], v[93:94], v[44:45]
	s_delay_alu instid0(VALU_DEP_4) | instskip(NEXT) | instid1(VALU_DEP_4)
	v_fma_f64 v[32:33], v[79:80], v[36:37], v[54:55]
	v_fma_f64 v[34:35], v[79:80], v[38:39], -v[56:57]
	v_fma_f64 v[36:37], v[89:90], v[40:41], v[58:59]
	v_fma_f64 v[38:39], v[89:90], v[42:43], -v[60:61]
	;; [unrolled: 2-line block ×3, first 2 shown]
	v_add_co_u32 v44, s0, v2, v4
	s_delay_alu instid0(VALU_DEP_1) | instskip(SKIP_4) | instid1(VALU_DEP_1)
	v_add_co_ci_u32_e64 v45, s0, v3, v5, s0
	v_mul_f64 v[2:3], v[0:1], s[2:3]
	v_mul_f64 v[4:5], v[12:13], s[2:3]
	;; [unrolled: 1-line block ×3, first 2 shown]
	v_add_co_u32 v46, s0, v44, s4
	v_add_co_ci_u32_e64 v47, s0, s5, v45, s0
	v_mul_f64 v[24:25], v[32:33], s[2:3]
	v_mul_f64 v[26:27], v[34:35], s[2:3]
	;; [unrolled: 1-line block ×4, first 2 shown]
	v_add_co_u32 v36, s0, v46, s6
	s_delay_alu instid0(VALU_DEP_1) | instskip(SKIP_2) | instid1(VALU_DEP_4)
	v_add_co_ci_u32_e64 v37, s0, s7, v47, s0
	v_mul_f64 v[32:33], v[40:41], s[2:3]
	v_mul_f64 v[34:35], v[42:43], s[2:3]
	v_add_co_u32 v38, s0, v36, s4
	s_delay_alu instid0(VALU_DEP_1) | instskip(NEXT) | instid1(VALU_DEP_2)
	v_add_co_ci_u32_e64 v39, s0, s5, v37, s0
	v_add_co_u32 v40, s0, v38, s6
	s_delay_alu instid0(VALU_DEP_1) | instskip(NEXT) | instid1(VALU_DEP_2)
	v_add_co_ci_u32_e64 v41, s0, s7, v39, s0
	;; [unrolled: 3-line block ×4, first 2 shown]
	v_add_co_u32 v0, s0, v48, s4
	s_delay_alu instid0(VALU_DEP_1)
	v_add_co_ci_u32_e64 v1, s0, s5, v49, s0
	s_clause 0x4
	global_store_b128 v[44:45], v[2:5], off
	global_store_b128 v[46:47], v[6:9], off
	;; [unrolled: 1-line block ×8, first 2 shown]
	s_and_b32 exec_lo, exec_lo, vcc_lo
	s_cbranch_execz .LBB0_39
; %bb.38:
	scratch_load_b64 v[2:3], off, off offset:36 ; 8-byte Folded Reload
	v_add_co_u32 v0, vcc_lo, v0, s6
	v_add_co_ci_u32_e32 v1, vcc_lo, s7, v1, vcc_lo
	s_waitcnt vmcnt(0)
	global_load_b128 v[2:5], v[2:3], off offset:1536
	scratch_load_b64 v[6:7], off, off offset:28 ; 8-byte Folded Reload
	s_waitcnt vmcnt(0)
	global_load_b128 v[6:9], v[6:7], off offset:3776
	ds_load_b128 v[10:13], v15 offset:5632
	ds_load_b128 v[14:17], v15 offset:11968
	s_waitcnt lgkmcnt(1)
	v_mul_f64 v[18:19], v[12:13], v[4:5]
	v_mul_f64 v[4:5], v[10:11], v[4:5]
	s_delay_alu instid0(VALU_DEP_2) | instskip(NEXT) | instid1(VALU_DEP_2)
	v_fma_f64 v[10:11], v[10:11], v[2:3], v[18:19]
	v_fma_f64 v[4:5], v[2:3], v[12:13], -v[4:5]
	s_delay_alu instid0(VALU_DEP_2) | instskip(NEXT) | instid1(VALU_DEP_2)
	v_mul_f64 v[2:3], v[10:11], s[2:3]
	v_mul_f64 v[4:5], v[4:5], s[2:3]
	v_add_co_u32 v10, vcc_lo, v0, s4
	v_add_co_ci_u32_e32 v11, vcc_lo, s5, v1, vcc_lo
	s_waitcnt vmcnt(0) lgkmcnt(0)
	v_mul_f64 v[20:21], v[16:17], v[8:9]
	v_mul_f64 v[8:9], v[14:15], v[8:9]
	s_delay_alu instid0(VALU_DEP_2) | instskip(NEXT) | instid1(VALU_DEP_2)
	v_fma_f64 v[12:13], v[14:15], v[6:7], v[20:21]
	v_fma_f64 v[8:9], v[6:7], v[16:17], -v[8:9]
	s_delay_alu instid0(VALU_DEP_2) | instskip(NEXT) | instid1(VALU_DEP_2)
	v_mul_f64 v[6:7], v[12:13], s[2:3]
	v_mul_f64 v[8:9], v[8:9], s[2:3]
	global_store_b128 v[0:1], v[2:5], off
	global_store_b128 v[10:11], v[6:9], off
.LBB0_39:
	s_nop 0
	s_sendmsg sendmsg(MSG_DEALLOC_VGPRS)
	s_endpgm
	.section	.rodata,"a",@progbits
	.p2align	6, 0x0
	.amdhsa_kernel bluestein_single_fwd_len792_dim1_dp_op_CI_CI
		.amdhsa_group_segment_fixed_size 25344
		.amdhsa_private_segment_fixed_size 260
		.amdhsa_kernarg_size 104
		.amdhsa_user_sgpr_count 15
		.amdhsa_user_sgpr_dispatch_ptr 0
		.amdhsa_user_sgpr_queue_ptr 0
		.amdhsa_user_sgpr_kernarg_segment_ptr 1
		.amdhsa_user_sgpr_dispatch_id 0
		.amdhsa_user_sgpr_private_segment_size 0
		.amdhsa_wavefront_size32 1
		.amdhsa_uses_dynamic_stack 0
		.amdhsa_enable_private_segment 1
		.amdhsa_system_sgpr_workgroup_id_x 1
		.amdhsa_system_sgpr_workgroup_id_y 0
		.amdhsa_system_sgpr_workgroup_id_z 0
		.amdhsa_system_sgpr_workgroup_info 0
		.amdhsa_system_vgpr_workitem_id 0
		.amdhsa_next_free_vgpr 256
		.amdhsa_next_free_sgpr 40
		.amdhsa_reserve_vcc 1
		.amdhsa_float_round_mode_32 0
		.amdhsa_float_round_mode_16_64 0
		.amdhsa_float_denorm_mode_32 3
		.amdhsa_float_denorm_mode_16_64 3
		.amdhsa_dx10_clamp 1
		.amdhsa_ieee_mode 1
		.amdhsa_fp16_overflow 0
		.amdhsa_workgroup_processor_mode 1
		.amdhsa_memory_ordered 1
		.amdhsa_forward_progress 0
		.amdhsa_shared_vgpr_count 0
		.amdhsa_exception_fp_ieee_invalid_op 0
		.amdhsa_exception_fp_denorm_src 0
		.amdhsa_exception_fp_ieee_div_zero 0
		.amdhsa_exception_fp_ieee_overflow 0
		.amdhsa_exception_fp_ieee_underflow 0
		.amdhsa_exception_fp_ieee_inexact 0
		.amdhsa_exception_int_div_zero 0
	.end_amdhsa_kernel
	.text
.Lfunc_end0:
	.size	bluestein_single_fwd_len792_dim1_dp_op_CI_CI, .Lfunc_end0-bluestein_single_fwd_len792_dim1_dp_op_CI_CI
                                        ; -- End function
	.section	.AMDGPU.csdata,"",@progbits
; Kernel info:
; codeLenInByte = 17532
; NumSgprs: 42
; NumVgprs: 256
; ScratchSize: 260
; MemoryBound: 0
; FloatMode: 240
; IeeeMode: 1
; LDSByteSize: 25344 bytes/workgroup (compile time only)
; SGPRBlocks: 5
; VGPRBlocks: 31
; NumSGPRsForWavesPerEU: 42
; NumVGPRsForWavesPerEU: 256
; Occupancy: 5
; WaveLimiterHint : 1
; COMPUTE_PGM_RSRC2:SCRATCH_EN: 1
; COMPUTE_PGM_RSRC2:USER_SGPR: 15
; COMPUTE_PGM_RSRC2:TRAP_HANDLER: 0
; COMPUTE_PGM_RSRC2:TGID_X_EN: 1
; COMPUTE_PGM_RSRC2:TGID_Y_EN: 0
; COMPUTE_PGM_RSRC2:TGID_Z_EN: 0
; COMPUTE_PGM_RSRC2:TIDIG_COMP_CNT: 0
	.text
	.p2alignl 7, 3214868480
	.fill 96, 4, 3214868480
	.type	__hip_cuid_26db91ff4c1c99c8,@object ; @__hip_cuid_26db91ff4c1c99c8
	.section	.bss,"aw",@nobits
	.globl	__hip_cuid_26db91ff4c1c99c8
__hip_cuid_26db91ff4c1c99c8:
	.byte	0                               ; 0x0
	.size	__hip_cuid_26db91ff4c1c99c8, 1

	.ident	"AMD clang version 19.0.0git (https://github.com/RadeonOpenCompute/llvm-project roc-6.4.0 25133 c7fe45cf4b819c5991fe208aaa96edf142730f1d)"
	.section	".note.GNU-stack","",@progbits
	.addrsig
	.addrsig_sym __hip_cuid_26db91ff4c1c99c8
	.amdgpu_metadata
---
amdhsa.kernels:
  - .args:
      - .actual_access:  read_only
        .address_space:  global
        .offset:         0
        .size:           8
        .value_kind:     global_buffer
      - .actual_access:  read_only
        .address_space:  global
        .offset:         8
        .size:           8
        .value_kind:     global_buffer
      - .actual_access:  read_only
        .address_space:  global
        .offset:         16
        .size:           8
        .value_kind:     global_buffer
      - .actual_access:  read_only
        .address_space:  global
        .offset:         24
        .size:           8
        .value_kind:     global_buffer
      - .actual_access:  read_only
        .address_space:  global
        .offset:         32
        .size:           8
        .value_kind:     global_buffer
      - .offset:         40
        .size:           8
        .value_kind:     by_value
      - .address_space:  global
        .offset:         48
        .size:           8
        .value_kind:     global_buffer
      - .address_space:  global
        .offset:         56
        .size:           8
        .value_kind:     global_buffer
      - .address_space:  global
        .offset:         64
        .size:           8
        .value_kind:     global_buffer
      - .address_space:  global
        .offset:         72
        .size:           8
        .value_kind:     global_buffer
      - .offset:         80
        .size:           4
        .value_kind:     by_value
      - .address_space:  global
        .offset:         88
        .size:           8
        .value_kind:     global_buffer
      - .address_space:  global
        .offset:         96
        .size:           8
        .value_kind:     global_buffer
    .group_segment_fixed_size: 25344
    .kernarg_segment_align: 8
    .kernarg_segment_size: 104
    .language:       OpenCL C
    .language_version:
      - 2
      - 0
    .max_flat_workgroup_size: 176
    .name:           bluestein_single_fwd_len792_dim1_dp_op_CI_CI
    .private_segment_fixed_size: 260
    .sgpr_count:     42
    .sgpr_spill_count: 0
    .symbol:         bluestein_single_fwd_len792_dim1_dp_op_CI_CI.kd
    .uniform_work_group_size: 1
    .uses_dynamic_stack: false
    .vgpr_count:     256
    .vgpr_spill_count: 64
    .wavefront_size: 32
    .workgroup_processor_mode: 1
amdhsa.target:   amdgcn-amd-amdhsa--gfx1100
amdhsa.version:
  - 1
  - 2
...

	.end_amdgpu_metadata
